;; amdgpu-corpus repo=ROCm/rocFFT kind=compiled arch=gfx1201 opt=O3
	.text
	.amdgcn_target "amdgcn-amd-amdhsa--gfx1201"
	.amdhsa_code_object_version 6
	.protected	bluestein_single_fwd_len357_dim1_sp_op_CI_CI ; -- Begin function bluestein_single_fwd_len357_dim1_sp_op_CI_CI
	.globl	bluestein_single_fwd_len357_dim1_sp_op_CI_CI
	.p2align	8
	.type	bluestein_single_fwd_len357_dim1_sp_op_CI_CI,@function
bluestein_single_fwd_len357_dim1_sp_op_CI_CI: ; @bluestein_single_fwd_len357_dim1_sp_op_CI_CI
; %bb.0:
	s_load_b128 s[12:15], s[0:1], 0x28
	v_mul_u32_u24_e32 v1, 0xf10, v0
	s_mov_b32 s2, exec_lo
	s_delay_alu instid0(VALU_DEP_1) | instskip(NEXT) | instid1(VALU_DEP_1)
	v_lshrrev_b32_e32 v1, 16, v1
	v_mad_co_u64_u32 v[118:119], null, ttmp9, 11, v[1:2]
	v_mov_b32_e32 v119, 0
	s_wait_kmcnt 0x0
	s_delay_alu instid0(VALU_DEP_1)
	v_cmpx_gt_u64_e64 s[12:13], v[118:119]
	s_cbranch_execz .LBB0_15
; %bb.1:
	s_clause 0x1
	s_load_b128 s[4:7], s[0:1], 0x18
	s_load_b64 s[12:13], s[0:1], 0x0
	v_mul_lo_u16 v1, v1, 17
	s_delay_alu instid0(VALU_DEP_1) | instskip(NEXT) | instid1(VALU_DEP_1)
	v_sub_nc_u16 v40, v0, v1
	v_and_b32_e32 v168, 0xffff, v40
	s_wait_kmcnt 0x0
	s_load_b128 s[8:11], s[4:5], 0x0
	s_wait_kmcnt 0x0
	v_mad_co_u64_u32 v[0:1], null, s10, v118, 0
	v_mad_co_u64_u32 v[2:3], null, s8, v168, 0
	s_mul_u64 s[2:3], s[8:9], 21
	s_delay_alu instid0(VALU_DEP_1) | instskip(SKIP_1) | instid1(VALU_DEP_1)
	v_mad_co_u64_u32 v[4:5], null, s11, v118, v[1:2]
	s_load_b64 s[10:11], s[0:1], 0x38
	v_mov_b32_e32 v1, v4
	s_delay_alu instid0(VALU_DEP_3) | instskip(SKIP_2) | instid1(VALU_DEP_4)
	v_mad_co_u64_u32 v[5:6], null, s9, v168, v[3:4]
	v_lshlrev_b32_e32 v72, 3, v168
	v_or_b32_e32 v169, 0x14c, v168
	v_lshlrev_b64_e32 v[0:1], 3, v[0:1]
	s_delay_alu instid0(VALU_DEP_4)
	v_mov_b32_e32 v3, v5
	s_clause 0xe
	global_load_b64 v[125:126], v72, s[12:13]
	global_load_b64 v[135:136], v72, s[12:13] offset:168
	global_load_b64 v[127:128], v72, s[12:13] offset:336
	;; [unrolled: 1-line block ×14, first 2 shown]
	v_lshlrev_b64_e32 v[4:5], 3, v[2:3]
	v_add_co_u32 v2, vcc_lo, s14, v0
	v_add_co_ci_u32_e32 v3, vcc_lo, s15, v1, vcc_lo
	s_lshl_b64 s[14:15], s[2:3], 3
	s_delay_alu instid0(VALU_DEP_2) | instskip(SKIP_1) | instid1(VALU_DEP_2)
	v_add_co_u32 v0, vcc_lo, v2, v4
	s_wait_alu 0xfffd
	v_add_co_ci_u32_e32 v1, vcc_lo, v3, v5, vcc_lo
	v_add_co_u32 v104, s2, s12, v72
	s_wait_alu 0xfffe
	v_add_co_u32 v4, vcc_lo, v0, s14
	s_wait_alu 0xfffd
	v_add_co_ci_u32_e32 v5, vcc_lo, s15, v1, vcc_lo
	global_load_b64 v[10:11], v[0:1], off
	v_add_co_u32 v6, vcc_lo, v4, s14
	s_wait_alu 0xfffd
	v_add_co_ci_u32_e32 v7, vcc_lo, s15, v5, vcc_lo
	v_add_co_ci_u32_e64 v105, null, s13, 0, s2
	s_delay_alu instid0(VALU_DEP_3) | instskip(SKIP_1) | instid1(VALU_DEP_3)
	v_add_co_u32 v8, vcc_lo, v6, s14
	s_wait_alu 0xfffd
	v_add_co_ci_u32_e32 v9, vcc_lo, s15, v7, vcc_lo
	s_delay_alu instid0(VALU_DEP_2) | instskip(SKIP_1) | instid1(VALU_DEP_2)
	v_add_co_u32 v0, vcc_lo, v8, s14
	s_wait_alu 0xfffd
	v_add_co_ci_u32_e32 v1, vcc_lo, s15, v9, vcc_lo
	s_clause 0x2
	global_load_b64 v[12:13], v[4:5], off
	global_load_b64 v[6:7], v[6:7], off
	;; [unrolled: 1-line block ×3, first 2 shown]
	v_add_co_u32 v4, vcc_lo, v0, s14
	s_wait_alu 0xfffd
	v_add_co_ci_u32_e32 v5, vcc_lo, s15, v1, vcc_lo
	global_load_b64 v[14:15], v[0:1], off
	v_add_co_u32 v0, vcc_lo, v4, s14
	s_wait_alu 0xfffd
	v_add_co_ci_u32_e32 v1, vcc_lo, s15, v5, vcc_lo
	global_load_b64 v[16:17], v[4:5], off
	;; [unrolled: 4-line block ×11, first 2 shown]
	v_add_co_u32 v0, vcc_lo, v4, s14
	s_wait_alu 0xfffd
	v_add_co_ci_u32_e32 v1, vcc_lo, s15, v5, vcc_lo
	global_load_b64 v[131:132], v72, s[12:13] offset:2520
	global_load_b64 v[36:37], v[4:5], off
	global_load_b64 v[110:111], v72, s[12:13] offset:2688
	global_load_b64 v[38:39], v[0:1], off
	v_mul_hi_u32 v4, 0xba2e8ba3, v118
	v_cmp_gt_u16_e32 vcc_lo, 4, v40
	s_load_b128 s[4:7], s[6:7], 0x0
	s_delay_alu instid0(VALU_DEP_2) | instskip(NEXT) | instid1(VALU_DEP_1)
	v_lshrrev_b32_e32 v4, 3, v4
	v_mul_lo_u32 v4, v4, 11
	s_delay_alu instid0(VALU_DEP_1) | instskip(NEXT) | instid1(VALU_DEP_1)
	v_sub_nc_u32_e32 v4, v118, v4
	v_mul_u32_u24_e32 v73, 0x165, v4
	v_or_b32_e32 v4, 0x50, v168
	s_delay_alu instid0(VALU_DEP_2)
	v_lshlrev_b32_e32 v106, 3, v73
	s_wait_loadcnt 0x15
	s_clause 0x2
	scratch_store_b64 off, v[44:45], off
	scratch_store_b32 off, v4, off offset:24
	scratch_store_b64 off, v[48:49], off offset:16
	s_wait_loadcnt 0x13
	scratch_store_b64 off, v[46:47], off offset:8 ; 8-byte Folded Spill
	v_or_b32_e32 v4, 0xa4, v168
	s_wait_loadcnt 0x12
	v_mul_f32_e32 v40, v11, v126
	v_mul_f32_e32 v5, v10, v126
	v_add_nc_u32_e32 v167, v72, v106
	s_delay_alu instid0(VALU_DEP_2)
	v_fma_f32 v41, v11, v125, -v5
	s_wait_loadcnt 0x11
	v_mul_f32_e32 v42, v13, v136
	v_dual_mul_f32 v43, v12, v136 :: v_dual_fmac_f32 v40, v10, v125
	s_wait_loadcnt 0x10
	v_dual_mul_f32 v10, v7, v128 :: v_dual_add_nc_u32 v5, 0x800, v167
	s_delay_alu instid0(VALU_DEP_3) | instskip(NEXT) | instid1(VALU_DEP_3)
	v_dual_fmac_f32 v42, v12, v135 :: v_dual_mul_f32 v11, v6, v128
	v_fma_f32 v43, v13, v135, -v43
	s_wait_loadcnt 0xf
	v_mul_f32_e32 v12, v9, v134
	s_delay_alu instid0(VALU_DEP_3)
	v_fma_f32 v11, v7, v127, -v11
	ds_store_2addr_b64 v167, v[40:41], v[42:43] offset1:21
	v_dual_mul_f32 v7, v8, v134 :: v_dual_fmac_f32 v10, v6, v127
	s_wait_loadcnt 0xd
	v_mul_f32_e32 v41, v16, v130
	v_fmac_f32_e32 v12, v8, v133
	v_mul_f32_e32 v6, v15, v139
	v_mul_f32_e32 v40, v14, v139
	;; [unrolled: 1-line block ×3, first 2 shown]
	v_fma_f32 v13, v9, v133, -v7
	v_fma_f32 v9, v17, v129, -v41
	v_fmac_f32_e32 v6, v14, v138
	v_fma_f32 v7, v15, v138, -v40
	v_fmac_f32_e32 v8, v16, v129
	s_wait_loadcnt 0xc
	v_mul_f32_e32 v14, v19, v113
	v_mul_f32_e32 v15, v18, v113
	ds_store_2addr_b64 v167, v[6:7], v[8:9] offset0:84 offset1:105
	s_wait_loadcnt 0xa
	v_mul_f32_e32 v9, v22, v115
	ds_store_2addr_b64 v167, v[10:11], v[12:13] offset0:42 offset1:63
	v_mul_f32_e32 v10, v21, v117
	v_dual_mul_f32 v7, v20, v117 :: v_dual_mul_f32 v6, v23, v115
	s_wait_loadcnt 0x9
	v_mul_f32_e32 v8, v25, v122
	v_mul_f32_e32 v12, v24, v122
	v_fmac_f32_e32 v10, v20, v116
	v_or_b32_e32 v20, 0xf8, v168
	scratch_store_b32 off, v4, off offset:32 ; 4-byte Folded Spill
	v_add_nc_u32_e32 v4, 0x400, v167
	v_fma_f32 v11, v21, v116, -v7
	v_fmac_f32_e32 v6, v22, v114
	v_fma_f32 v7, v23, v114, -v9
	v_fmac_f32_e32 v8, v24, v121
	v_fma_f32 v9, v25, v121, -v12
	v_fma_f32 v15, v19, v112, -v15
	s_wait_loadcnt 0x7
	v_mul_f32_e32 v12, v29, v49
	scratch_store_b32 off, v20, off offset:28 ; 4-byte Folded Spill
	ds_store_2addr_b64 v167, v[6:7], v[8:9] offset0:168 offset1:189
	v_mul_f32_e32 v7, v28, v49
	s_wait_loadcnt 0x6
	v_mul_f32_e32 v6, v31, v45
	s_wait_loadcnt 0x5
	v_mul_f32_e32 v8, v33, v120
	v_mul_f32_e32 v9, v32, v120
	v_fmac_f32_e32 v12, v28, v48
	v_fma_f32 v13, v29, v48, -v7
	v_mul_f32_e32 v7, v30, v45
	v_fmac_f32_e32 v6, v30, v44
	v_fmac_f32_e32 v8, v32, v119
	s_wait_loadcnt 0x2
	v_mul_f32_e32 v17, v36, v132
	v_fmac_f32_e32 v14, v18, v112
	v_mul_f32_e32 v16, v37, v132
	s_wait_loadcnt 0x0
	v_mul_f32_e32 v18, v39, v111
	v_mul_f32_e32 v19, v38, v111
	v_fma_f32 v7, v31, v44, -v7
	ds_store_2addr_b64 v167, v[14:15], v[10:11] offset0:126 offset1:147
	v_mul_f32_e32 v10, v27, v124
	v_dual_mul_f32 v11, v26, v124 :: v_dual_mul_f32 v14, v35, v47
	v_mul_f32_e32 v15, v34, v47
	v_fma_f32 v9, v33, v119, -v9
	s_delay_alu instid0(VALU_DEP_4) | instskip(NEXT) | instid1(VALU_DEP_4)
	v_fmac_f32_e32 v10, v26, v123
	v_fma_f32 v11, v27, v123, -v11
	v_fmac_f32_e32 v14, v34, v46
	v_fma_f32 v15, v35, v46, -v15
	;; [unrolled: 2-line block ×4, first 2 shown]
	ds_store_2addr_b64 v167, v[10:11], v[12:13] offset0:210 offset1:231
	ds_store_2addr_b64 v4, v[6:7], v[8:9] offset0:124 offset1:145
	;; [unrolled: 1-line block ×3, first 2 shown]
	ds_store_b64 v167, v[18:19] offset:2688
	s_and_saveexec_b32 s3, vcc_lo
	s_cbranch_execz .LBB0_3
; %bb.2:
	v_or_b32_e32 v10, 0x50, v168
	v_or_b32_e32 v15, 0xa4, v168
	v_mad_co_u64_u32 v[0:1], null, 0xfffff608, s8, v[0:1]
	v_or_b32_e32 v33, 0xf8, v168
	s_delay_alu instid0(VALU_DEP_4) | instskip(NEXT) | instid1(VALU_DEP_4)
	v_mad_co_u64_u32 v[6:7], null, s8, v10, 0
	v_mad_co_u64_u32 v[8:9], null, s8, v15, 0
	s_mul_i32 s2, s9, 0xfffff608
	s_delay_alu instid0(VALU_DEP_3) | instskip(SKIP_3) | instid1(VALU_DEP_3)
	v_mad_co_u64_u32 v[19:20], null, s8, v33, 0
	s_wait_alu 0xfffe
	s_sub_co_i32 s2, s2, s8
	v_mad_co_u64_u32 v[21:22], null, s8, v169, 0
	v_mad_co_u64_u32 v[10:11], null, s9, v10, v[7:8]
	s_wait_alu 0xfffe
	v_add_nc_u32_e32 v1, s2, v1
	s_mul_u64 s[16:17], s[8:9], 0x150
	s_delay_alu instid0(VALU_DEP_2)
	v_mov_b32_e32 v7, v10
	v_mad_co_u64_u32 v[9:10], null, s9, v15, v[9:10]
	v_mov_b32_e32 v10, v20
	global_load_b64 v[11:12], v[0:1], off
	v_add_co_u32 v0, s2, v0, s14
	s_wait_alu 0xf1ff
	v_add_co_ci_u32_e64 v1, s2, s15, v1, s2
	v_lshlrev_b64_e32 v[8:9], 3, v[8:9]
	s_delay_alu instid0(VALU_DEP_3) | instskip(SKIP_1) | instid1(VALU_DEP_3)
	v_add_co_u32 v13, s2, v0, s14
	s_wait_alu 0xf1ff
	v_add_co_ci_u32_e64 v14, s2, s15, v1, s2
	global_load_b64 v[0:1], v[0:1], off
	global_load_b64 v[15:16], v[13:14], off
	s_wait_loadcnt 0x2
	v_mad_co_u64_u32 v[33:34], null, s9, v33, v[10:11]
	v_mov_b32_e32 v10, v22
	v_lshlrev_b64_e32 v[6:7], 3, v[6:7]
	s_delay_alu instid0(VALU_DEP_2) | instskip(NEXT) | instid1(VALU_DEP_2)
	v_mad_co_u64_u32 v[34:35], null, s9, v169, v[10:11]
	v_add_co_u32 v6, s2, v2, v6
	s_wait_alu 0xf1ff
	s_delay_alu instid0(VALU_DEP_3)
	v_add_co_ci_u32_e64 v7, s2, v3, v7, s2
	v_add_co_u32 v13, s2, v13, s16
	s_wait_alu 0xf1ff
	v_add_co_ci_u32_e64 v14, s2, s17, v14, s2
	global_load_b64 v[6:7], v[6:7], off
	v_add_co_u32 v17, s2, v13, s14
	s_wait_alu 0xf1ff
	v_add_co_ci_u32_e64 v18, s2, s15, v14, s2
	v_add_co_u32 v8, s2, v2, v8
	s_clause 0x3
	global_load_b64 v[23:24], v[104:105], off offset:136
	global_load_b64 v[25:26], v[104:105], off offset:304
	;; [unrolled: 1-line block ×4, first 2 shown]
	s_wait_alu 0xf1ff
	v_add_co_ci_u32_e64 v9, s2, v3, v9, s2
	global_load_b64 v[13:14], v[13:14], off
	global_load_b64 v[31:32], v[17:18], off
	v_mov_b32_e32 v20, v33
	global_load_b64 v[8:9], v[8:9], off
	v_mov_b32_e32 v22, v34
	s_clause 0x3
	global_load_b64 v[33:34], v[104:105], off offset:808
	global_load_b64 v[35:36], v[104:105], off offset:976
	;; [unrolled: 1-line block ×4, first 2 shown]
	v_add_co_u32 v17, s2, v17, s14
	s_wait_alu 0xf1ff
	v_add_co_ci_u32_e64 v18, s2, s15, v18, s2
	s_wait_loadcnt 0xa
	v_mul_f32_e32 v10, v12, v24
	s_wait_loadcnt 0x9
	v_dual_mul_f32 v71, v11, v24 :: v_dual_mul_f32 v24, v1, v26
	v_mul_f32_e32 v26, v0, v26
	v_lshlrev_b64_e32 v[19:20], 3, v[19:20]
	v_fmac_f32_e32 v10, v11, v23
	s_delay_alu instid0(VALU_DEP_4)
	v_fma_f32 v11, v12, v23, -v71
	v_fmac_f32_e32 v24, v0, v25
	s_wait_loadcnt 0x3
	v_mul_f32_e32 v12, v14, v34
	v_mul_f32_e32 v23, v13, v34
	v_add_co_u32 v19, s2, v2, v19
	s_wait_alu 0xf1ff
	v_add_co_ci_u32_e64 v20, s2, v3, v20, s2
	v_fmac_f32_e32 v12, v13, v33
	v_fma_f32 v13, v14, v33, -v23
	s_wait_loadcnt 0x0
	v_mul_f32_e32 v23, v9, v40
	v_fma_f32 v25, v1, v25, -v26
	v_mul_f32_e32 v1, v15, v28
	v_lshlrev_b64_e32 v[21:22], 3, v[21:22]
	s_delay_alu instid0(VALU_DEP_4) | instskip(NEXT) | instid1(VALU_DEP_3)
	v_fmac_f32_e32 v23, v8, v39
	v_fma_f32 v1, v16, v27, -v1
	s_delay_alu instid0(VALU_DEP_3) | instskip(SKIP_1) | instid1(VALU_DEP_4)
	v_add_co_u32 v2, s2, v2, v21
	s_wait_alu 0xf1ff
	v_add_co_ci_u32_e64 v3, s2, v3, v22, s2
	v_add_co_u32 v21, s2, v17, s16
	s_wait_alu 0xf1ff
	v_add_co_ci_u32_e64 v22, s2, s17, v18, s2
	global_load_b64 v[19:20], v[19:20], off
	global_load_b64 v[41:42], v[104:105], off offset:1984
	global_load_b64 v[2:3], v[2:3], off
	global_load_b64 v[43:44], v[104:105], off offset:2656
	global_load_b64 v[17:18], v[17:18], off
	v_add_co_u32 v45, s2, v21, s14
	s_wait_alu 0xf1ff
	v_add_co_ci_u32_e64 v46, s2, s15, v22, s2
	global_load_b64 v[21:22], v[21:22], off
	v_add_co_u32 v47, s2, v45, s14
	s_wait_alu 0xf1ff
	v_add_co_ci_u32_e64 v48, s2, s15, v46, s2
	;; [unrolled: 4-line block ×3, first 2 shown]
	s_clause 0x1
	global_load_b64 v[51:52], v[104:105], off offset:1480
	global_load_b64 v[53:54], v[104:105], off offset:1648
	v_add_co_u32 v55, s2, v49, s14
	s_wait_alu 0xf1ff
	v_add_co_ci_u32_e64 v56, s2, s15, v50, s2
	global_load_b64 v[57:58], v[104:105], off offset:1816
	global_load_b64 v[47:48], v[47:48], off
	global_load_b64 v[49:50], v[49:50], off
	global_load_b64 v[59:60], v[104:105], off offset:2152
	global_load_b64 v[61:62], v[55:56], off
	v_add_co_u32 v55, s2, v55, s14
	s_wait_alu 0xf1ff
	v_add_co_ci_u32_e64 v56, s2, s15, v56, s2
	global_load_b64 v[63:64], v[104:105], off offset:2320
	v_add_co_u32 v65, s2, v55, s16
	s_wait_alu 0xf1ff
	v_add_co_ci_u32_e64 v66, s2, s17, v56, s2
	global_load_b64 v[67:68], v[104:105], off offset:2488
	global_load_b64 v[55:56], v[55:56], off
	global_load_b64 v[69:70], v[104:105], off offset:2824
	global_load_b64 v[65:66], v[65:66], off
	v_mul_f32_e32 v0, v16, v28
	v_mul_f32_e32 v14, v7, v30
	s_delay_alu instid0(VALU_DEP_2) | instskip(NEXT) | instid1(VALU_DEP_1)
	v_dual_fmac_f32 v0, v15, v27 :: v_dual_mul_f32 v15, v6, v30
	v_fma_f32 v15, v7, v29, -v15
	s_wait_loadcnt 0x11
	v_mul_f32_e32 v26, v19, v42
	s_wait_loadcnt 0xf
	v_mul_f32_e32 v28, v2, v44
	v_mul_f32_e32 v27, v3, v44
	ds_store_2addr_b64 v167, v[10:11], v[24:25] offset0:17 offset1:38
	v_mul_f32_e32 v10, v32, v36
	v_mul_f32_e32 v11, v31, v36
	v_fma_f32 v28, v3, v43, -v28
	v_mul_f32_e32 v24, v8, v40
	v_mul_f32_e32 v25, v20, v42
	s_wait_loadcnt 0xe
	v_mul_f32_e32 v16, v18, v38
	v_fma_f32 v11, v32, v35, -v11
	v_dual_mul_f32 v30, v17, v38 :: v_dual_fmac_f32 v27, v2, v43
	v_fmac_f32_e32 v25, v19, v41
	s_wait_loadcnt 0xb
	v_dual_mul_f32 v3, v21, v52 :: v_dual_fmac_f32 v14, v6, v29
	v_mul_f32_e32 v2, v22, v52
	s_wait_loadcnt 0x8
	v_mul_f32_e32 v6, v48, v58
	v_mul_f32_e32 v7, v47, v58
	v_fma_f32 v24, v9, v39, -v24
	ds_store_2addr_b64 v167, v[0:1], v[14:15] offset0:59 offset1:80
	v_dual_mul_f32 v1, v45, v54 :: v_dual_fmac_f32 v10, v31, v35
	v_mul_f32_e32 v0, v46, v54
	s_wait_loadcnt 0x6
	v_mul_f32_e32 v8, v50, v60
	v_mul_f32_e32 v9, v49, v60
	v_fmac_f32_e32 v2, v21, v51
	ds_store_2addr_b64 v167, v[12:13], v[10:11] offset0:101 offset1:122
	s_wait_loadcnt 0x4
	v_mul_f32_e32 v11, v61, v64
	v_mul_f32_e32 v10, v62, v64
	s_wait_loadcnt 0x2
	v_mul_f32_e32 v12, v56, v68
	s_wait_loadcnt 0x0
	v_dual_mul_f32 v13, v55, v68 :: v_dual_mul_f32 v14, v66, v70
	v_mul_f32_e32 v15, v65, v70
	v_fmac_f32_e32 v16, v17, v37
	v_fma_f32 v17, v18, v37, -v30
	v_fma_f32 v3, v22, v51, -v3
	v_fmac_f32_e32 v0, v45, v53
	v_fma_f32 v1, v46, v53, -v1
	v_fma_f32 v26, v20, v41, -v26
	v_fmac_f32_e32 v6, v47, v57
	v_fma_f32 v7, v48, v57, -v7
	v_fmac_f32_e32 v8, v49, v59
	;; [unrolled: 2-line block ×5, first 2 shown]
	v_fma_f32 v15, v66, v69, -v15
	ds_store_2addr_b64 v167, v[16:17], v[23:24] offset0:143 offset1:164
	ds_store_2addr_b64 v167, v[2:3], v[0:1] offset0:185 offset1:206
	;; [unrolled: 1-line block ×5, first 2 shown]
	ds_store_b64 v167, v[14:15] offset:2824
.LBB0_3:
	s_wait_alu 0xfffe
	s_or_b32 exec_lo, exec_lo, s3
	global_wb scope:SCOPE_SE
	s_wait_storecnt_dscnt 0x0
	s_wait_kmcnt 0x0
	s_barrier_signal -1
	s_barrier_wait -1
	global_inv scope:SCOPE_SE
	ds_load_2addr_b64 v[60:63], v167 offset1:21
	ds_load_2addr_b64 v[52:55], v167 offset0:42 offset1:63
	ds_load_2addr_b64 v[44:47], v167 offset0:84 offset1:105
	;; [unrolled: 1-line block ×7, first 2 shown]
	ds_load_b64 v[66:67], v167 offset:2688
	s_load_b64 s[0:1], s[0:1], 0x8
	v_mov_b32_e32 v0, 0
	v_mov_b32_e32 v1, 0
                                        ; implicit-def: $vgpr18
                                        ; implicit-def: $vgpr12
                                        ; implicit-def: $vgpr4
                                        ; implicit-def: $vgpr8
                                        ; implicit-def: $vgpr64
                                        ; implicit-def: $vgpr26
                                        ; implicit-def: $vgpr30
                                        ; implicit-def: $vgpr22
	s_and_saveexec_b32 s2, vcc_lo
	s_cbranch_execz .LBB0_5
; %bb.4:
	v_add_nc_u32_e32 v8, 0x800, v167
	ds_load_2addr_b64 v[0:3], v167 offset0:17 offset1:38
	ds_load_2addr_b64 v[20:23], v167 offset0:59 offset1:80
	;; [unrolled: 1-line block ×8, first 2 shown]
	ds_load_b64 v[64:65], v167 offset:2824
.LBB0_5:
	s_wait_alu 0xfffe
	s_or_b32 exec_lo, exec_lo, s2
	s_wait_dscnt 0x8
	v_dual_add_f32 v68, v60, v62 :: v_dual_add_f32 v69, v61, v63
	s_wait_dscnt 0x0
	v_dual_add_f32 v70, v66, v62 :: v_dual_sub_f32 v71, v63, v67
	v_add_f32_e32 v141, v58, v52
	s_delay_alu instid0(VALU_DEP_3) | instskip(SKIP_2) | instid1(VALU_DEP_3)
	v_dual_add_f32 v68, v68, v52 :: v_dual_add_f32 v69, v69, v53
	v_dual_sub_f32 v62, v62, v66 :: v_dual_sub_f32 v103, v53, v59
	v_add_co_u32 v74, null, v168, 17
	v_dual_add_f32 v68, v68, v54 :: v_dual_add_f32 v63, v67, v63
	s_delay_alu instid0(VALU_DEP_4) | instskip(NEXT) | instid1(VALU_DEP_4)
	v_add_f32_e32 v69, v69, v55
	v_dual_mul_f32 v75, 0xbeb8f4ab, v71 :: v_dual_mul_f32 v76, 0xbeb8f4ab, v62
	s_delay_alu instid0(VALU_DEP_3) | instskip(NEXT) | instid1(VALU_DEP_3)
	v_dual_add_f32 v68, v68, v44 :: v_dual_mul_f32 v77, 0xbf2c7751, v71
	v_dual_mul_f32 v78, 0xbf2c7751, v62 :: v_dual_add_f32 v69, v69, v45
	s_delay_alu instid0(VALU_DEP_2) | instskip(SKIP_2) | instid1(VALU_DEP_4)
	v_dual_mul_f32 v79, 0xbf65296c, v71 :: v_dual_add_f32 v68, v68, v46
	v_mul_f32_e32 v80, 0xbf65296c, v62
	v_fma_f32 v84, 0x3f6eb680, v70, -v75
	v_add_f32_e32 v69, v69, v47
	v_fma_f32 v86, 0x3f3d2fb0, v70, -v77
	v_add_f32_e32 v68, v68, v36
	v_fma_f32 v88, 0x3ee437d1, v70, -v79
	v_dual_mul_f32 v81, 0xbf7ee86f, v71 :: v_dual_mul_f32 v82, 0xbf7ee86f, v62
	v_add_f32_e32 v69, v69, v37
	s_delay_alu instid0(VALU_DEP_4) | instskip(SKIP_3) | instid1(VALU_DEP_4)
	v_dual_mul_f32 v83, 0xbf763a35, v71 :: v_dual_add_f32 v68, v68, v38
	v_fmamk_f32 v85, v63, 0x3f6eb680, v76
	v_dual_fmamk_f32 v87, v63, 0x3f3d2fb0, v78 :: v_dual_add_f32 v84, v60, v84
	v_fma_f32 v78, 0x3f3d2fb0, v63, -v78
	v_dual_add_f32 v68, v68, v32 :: v_dual_add_f32 v69, v69, v39
	v_fmamk_f32 v91, v63, 0x3dbcf732, v82
	v_fma_f32 v82, 0x3dbcf732, v63, -v82
	s_delay_alu instid0(VALU_DEP_4) | instskip(NEXT) | instid1(VALU_DEP_4)
	v_add_f32_e32 v78, v61, v78
	v_add_f32_e32 v68, v68, v34
	v_fmac_f32_e32 v75, 0x3f6eb680, v70
	v_fma_f32 v90, 0x3dbcf732, v70, -v81
	v_fma_f32 v76, 0x3f6eb680, v63, -v76
	s_delay_alu instid0(VALU_DEP_4)
	v_dual_fmamk_f32 v89, v63, 0x3ee437d1, v80 :: v_dual_add_f32 v68, v68, v40
	v_add_f32_e32 v69, v69, v33
	v_add_f32_e32 v75, v60, v75
	v_fma_f32 v80, 0x3ee437d1, v63, -v80
	v_fmac_f32_e32 v81, 0x3dbcf732, v70
	v_add_f32_e32 v68, v68, v42
	v_fmac_f32_e32 v77, 0x3f3d2fb0, v70
	v_dual_add_f32 v85, v61, v85 :: v_dual_add_f32 v90, v60, v90
	v_add_f32_e32 v82, v61, v82
	s_delay_alu instid0(VALU_DEP_4) | instskip(NEXT) | instid1(VALU_DEP_4)
	v_dual_add_f32 v68, v68, v48 :: v_dual_add_f32 v69, v69, v35
	v_add_f32_e32 v77, v60, v77
	v_add_f32_e32 v86, v60, v86
	;; [unrolled: 1-line block ×3, first 2 shown]
	s_delay_alu instid0(VALU_DEP_4) | instskip(SKIP_1) | instid1(VALU_DEP_2)
	v_dual_add_f32 v68, v68, v50 :: v_dual_add_f32 v69, v69, v41
	v_dual_fmac_f32 v79, 0x3ee437d1, v70 :: v_dual_add_f32 v88, v60, v88
	v_dual_add_f32 v53, v59, v53 :: v_dual_add_f32 v68, v68, v56
	s_delay_alu instid0(VALU_DEP_3)
	v_add_f32_e32 v69, v69, v43
	v_add_f32_e32 v80, v61, v80
	v_mul_u32_u24_e32 v107, 17, v74
	global_wb scope:SCOPE_SE
	v_dual_add_f32 v68, v68, v58 :: v_dual_add_f32 v69, v69, v49
	s_wait_kmcnt 0x0
	s_barrier_signal -1
	s_barrier_wait -1
	global_inv scope:SCOPE_SE
	v_dual_add_f32 v66, v68, v66 :: v_dual_add_f32 v69, v69, v51
	v_mul_f32_e32 v68, 0xbf763a35, v62
	v_dual_mul_f32 v96, 0xbf06c442, v71 :: v_dual_mul_f32 v99, 0xbf06c442, v62
	v_add_f32_e32 v87, v61, v87
	s_delay_alu instid0(VALU_DEP_3) | instskip(NEXT) | instid1(VALU_DEP_3)
	v_dual_add_f32 v69, v69, v57 :: v_dual_fmamk_f32 v92, v63, 0xbe8c1d8e, v68
	v_fma_f32 v98, 0xbf59a7d5, v70, -v96
	v_add_f32_e32 v79, v60, v79
	v_fma_f32 v68, 0xbe8c1d8e, v63, -v68
	s_delay_alu instid0(VALU_DEP_4)
	v_add_f32_e32 v69, v69, v59
	v_add_f32_e32 v81, v60, v81
	;; [unrolled: 1-line block ×3, first 2 shown]
	v_fmamk_f32 v100, v63, 0xbf59a7d5, v99
	v_add_f32_e32 v68, v61, v68
	v_add_f32_e32 v67, v69, v67
	v_mul_f32_e32 v93, 0xbf4c4adb, v71
	v_dual_mul_f32 v71, 0xbe3c28d5, v71 :: v_dual_sub_f32 v52, v52, v58
	v_add_f32_e32 v69, v61, v91
	v_fma_f32 v91, 0xbe8c1d8e, v70, -v83
	v_fmac_f32_e32 v96, 0xbf59a7d5, v70
	s_delay_alu instid0(VALU_DEP_4)
	v_fma_f32 v101, 0xbf7ba420, v70, -v71
	v_mul_f32_e32 v59, 0xbf2c7751, v52
	v_fmac_f32_e32 v83, 0xbe8c1d8e, v70
	v_dual_add_f32 v91, v60, v91 :: v_dual_add_f32 v100, v61, v100
	v_fma_f32 v94, 0xbf1a4643, v70, -v93
	v_fmac_f32_e32 v93, 0xbf1a4643, v70
	v_add_f32_e32 v101, v60, v101
	v_fmac_f32_e32 v71, 0xbf7ba420, v70
	v_mul_f32_e32 v95, 0xbf4c4adb, v62
	v_mul_f32_e32 v62, 0xbe3c28d5, v62
	v_fmamk_f32 v70, v53, 0x3f3d2fb0, v59
	v_dual_add_f32 v89, v61, v89 :: v_dual_add_f32 v94, v60, v94
	v_add_f32_e32 v96, v60, v96
	s_delay_alu instid0(VALU_DEP_4) | instskip(NEXT) | instid1(VALU_DEP_4)
	v_dual_add_f32 v83, v60, v83 :: v_dual_fmamk_f32 v102, v63, 0xbf7ba420, v62
	v_add_f32_e32 v70, v70, v85
	v_add_f32_e32 v93, v60, v93
	v_dual_add_f32 v60, v60, v71 :: v_dual_fmamk_f32 v97, v63, 0xbf1a4643, v95
	s_delay_alu instid0(VALU_DEP_4)
	v_add_f32_e32 v102, v61, v102
	v_mul_f32_e32 v58, 0xbf2c7751, v103
	v_fma_f32 v95, 0xbf1a4643, v63, -v95
	v_fma_f32 v99, 0xbf59a7d5, v63, -v99
	v_add_f32_e32 v97, v61, v97
	v_fma_f32 v62, 0xbf7ba420, v63, -v62
	v_fma_f32 v63, 0x3f3d2fb0, v141, -v58
	;; [unrolled: 1-line block ×3, first 2 shown]
	v_add_f32_e32 v99, v61, v99
	v_mul_f32_e32 v85, 0xbf4c4adb, v52
	v_add_f32_e32 v92, v61, v92
	v_add_f32_e32 v63, v63, v84
	v_mul_f32_e32 v84, 0xbf7ee86f, v52
	v_dual_add_f32 v59, v59, v76 :: v_dual_sub_f32 v148, v21, v11
	v_dual_sub_f32 v151, v20, v10 :: v_dual_add_f32 v176, v7, v29
	s_delay_alu instid0(VALU_DEP_3) | instskip(SKIP_3) | instid1(VALU_DEP_4)
	v_fmamk_f32 v76, v53, 0x3dbcf732, v84
	v_dual_add_f32 v95, v61, v95 :: v_dual_fmac_f32 v58, 0x3f3d2fb0, v141
	v_dual_add_f32 v61, v61, v62 :: v_dual_mul_f32 v62, 0xbf7ee86f, v103
	v_fma_f32 v84, 0x3dbcf732, v53, -v84
	v_add_f32_e32 v76, v76, v87
	s_delay_alu instid0(VALU_DEP_4)
	v_add_f32_e32 v58, v58, v75
	v_add_f32_e32 v184, v4, v30
	v_fma_f32 v71, 0x3dbcf732, v141, -v62
	v_fmac_f32_e32 v62, 0x3dbcf732, v141
	v_mul_f32_e32 v75, 0xbf4c4adb, v103
	v_sub_f32_e32 v181, v30, v4
	v_add_f32_e32 v185, v5, v31
	s_delay_alu instid0(VALU_DEP_4) | instskip(NEXT) | instid1(VALU_DEP_4)
	v_dual_add_f32 v71, v71, v86 :: v_dual_add_f32 v62, v62, v77
	v_fma_f32 v86, 0xbf1a4643, v141, -v75
	v_dual_add_f32 v77, v84, v78 :: v_dual_add_f32 v194, v15, v25
	v_add_f32_e32 v199, v13, v27
	s_delay_alu instid0(VALU_DEP_3)
	v_dual_sub_f32 v215, v16, v18 :: v_dual_add_f32 v84, v86, v88
	v_mul_f32_e32 v86, 0xbe3c28d5, v103
	v_fmamk_f32 v78, v53, 0xbf1a4643, v85
	v_fma_f32 v85, 0xbf1a4643, v53, -v85
	v_add_f32_e32 v205, v18, v16
	v_sub_f32_e32 v213, v17, v19
	v_fma_f32 v88, 0xbf7ba420, v141, -v86
	v_fmac_f32_e32 v86, 0xbf7ba420, v141
	v_add_f32_e32 v78, v78, v89
	s_delay_alu instid0(VALU_DEP_3) | instskip(NEXT) | instid1(VALU_DEP_3)
	v_dual_add_f32 v88, v88, v90 :: v_dual_fmac_f32 v75, 0xbf1a4643, v141
	v_dual_add_f32 v81, v86, v81 :: v_dual_mul_f32 v90, 0x3f763a35, v52
	s_delay_alu instid0(VALU_DEP_2) | instskip(SKIP_1) | instid1(VALU_DEP_1)
	v_add_f32_e32 v75, v75, v79
	v_dual_add_f32 v79, v85, v80 :: v_dual_mul_f32 v80, 0x3f06c442, v103
	v_fma_f32 v89, 0xbf59a7d5, v141, -v80
	v_fmac_f32_e32 v80, 0xbf59a7d5, v141
	s_delay_alu instid0(VALU_DEP_2) | instskip(NEXT) | instid1(VALU_DEP_1)
	v_dual_mul_f32 v87, 0xbe3c28d5, v52 :: v_dual_add_f32 v86, v89, v91
	v_dual_add_f32 v80, v80, v83 :: v_dual_fmamk_f32 v85, v53, 0xbf7ba420, v87
	v_fma_f32 v87, 0xbf7ba420, v53, -v87
	v_fmamk_f32 v83, v53, 0xbe8c1d8e, v90
	v_fma_f32 v90, 0xbe8c1d8e, v53, -v90
	s_delay_alu instid0(VALU_DEP_4) | instskip(NEXT) | instid1(VALU_DEP_4)
	v_add_f32_e32 v69, v85, v69
	v_dual_mul_f32 v85, 0x3f06c442, v52 :: v_dual_add_f32 v82, v87, v82
	v_mul_f32_e32 v87, 0x3f763a35, v103
	s_delay_alu instid0(VALU_DEP_2) | instskip(NEXT) | instid1(VALU_DEP_2)
	v_dual_add_f32 v90, v90, v95 :: v_dual_fmamk_f32 v89, v53, 0xbf59a7d5, v85
	v_fma_f32 v91, 0xbe8c1d8e, v141, -v87
	v_fmac_f32_e32 v87, 0xbe8c1d8e, v141
	s_delay_alu instid0(VALU_DEP_3) | instskip(SKIP_1) | instid1(VALU_DEP_3)
	v_add_f32_e32 v89, v89, v92
	v_mul_f32_e32 v92, 0x3f65296c, v52
	v_dual_mul_f32 v52, 0x3eb8f4ab, v52 :: v_dual_add_f32 v87, v87, v93
	v_mul_f32_e32 v93, 0x3eb8f4ab, v103
	s_delay_alu instid0(VALU_DEP_3) | instskip(SKIP_1) | instid1(VALU_DEP_1)
	v_fmamk_f32 v95, v53, 0x3ee437d1, v92
	v_fma_f32 v92, 0x3ee437d1, v53, -v92
	v_add_f32_e32 v92, v92, v99
	v_fma_f32 v85, 0xbf59a7d5, v53, -v85
	v_dual_sub_f32 v99, v54, v56 :: v_dual_add_f32 v54, v56, v54
	s_delay_alu instid0(VALU_DEP_2) | instskip(SKIP_1) | instid1(VALU_DEP_1)
	v_dual_add_f32 v68, v85, v68 :: v_dual_add_f32 v85, v91, v94
	v_mul_f32_e32 v91, 0x3f65296c, v103
	v_fma_f32 v94, 0x3ee437d1, v141, -v91
	s_delay_alu instid0(VALU_DEP_1) | instskip(SKIP_2) | instid1(VALU_DEP_1)
	v_add_f32_e32 v94, v94, v98
	v_fmamk_f32 v98, v53, 0x3f6eb680, v52
	v_fma_f32 v52, 0x3f6eb680, v53, -v52
	v_dual_add_f32 v53, v57, v55 :: v_dual_add_f32 v52, v52, v61
	v_add_f32_e32 v83, v83, v97
	v_fma_f32 v97, 0x3f6eb680, v141, -v93
	v_fmac_f32_e32 v93, 0x3f6eb680, v141
	s_delay_alu instid0(VALU_DEP_1) | instskip(NEXT) | instid1(VALU_DEP_1)
	v_dual_add_f32 v60, v93, v60 :: v_dual_fmac_f32 v91, 0x3ee437d1, v141
	v_dual_add_f32 v91, v91, v96 :: v_dual_add_f32 v96, v97, v101
	v_sub_f32_e32 v97, v55, v57
	v_mul_f32_e32 v55, 0xbf65296c, v99
	s_delay_alu instid0(VALU_DEP_2) | instskip(NEXT) | instid1(VALU_DEP_2)
	v_dual_add_f32 v57, v98, v102 :: v_dual_mul_f32 v56, 0xbf65296c, v97
	v_fmamk_f32 v61, v53, 0x3ee437d1, v55
	v_mul_f32_e32 v93, 0xbf4c4adb, v97
	v_fma_f32 v55, 0x3ee437d1, v53, -v55
	s_delay_alu instid0(VALU_DEP_4)
	v_fma_f32 v98, 0x3ee437d1, v54, -v56
	v_fmac_f32_e32 v56, 0x3ee437d1, v54
	v_add_f32_e32 v61, v61, v70
	v_fma_f32 v70, 0xbf1a4643, v54, -v93
	v_add_f32_e32 v55, v55, v59
	v_add_f32_e32 v63, v98, v63
	v_mul_f32_e32 v98, 0xbf4c4adb, v99
	s_delay_alu instid0(VALU_DEP_4) | instskip(NEXT) | instid1(VALU_DEP_2)
	v_dual_add_f32 v56, v56, v58 :: v_dual_add_f32 v59, v70, v71
	v_fmamk_f32 v70, v53, 0xbf1a4643, v98
	v_mul_f32_e32 v58, 0x3e3c28d5, v97
	v_fma_f32 v71, 0xbf1a4643, v53, -v98
	s_delay_alu instid0(VALU_DEP_3) | instskip(NEXT) | instid1(VALU_DEP_3)
	v_add_f32_e32 v70, v70, v76
	v_fma_f32 v98, 0xbf7ba420, v54, -v58
	v_fmac_f32_e32 v58, 0xbf7ba420, v54
	s_delay_alu instid0(VALU_DEP_2) | instskip(SKIP_3) | instid1(VALU_DEP_3)
	v_add_f32_e32 v76, v98, v84
	v_dual_add_f32 v95, v95, v100 :: v_dual_mul_f32 v100, 0x3e3c28d5, v99
	v_mul_f32_e32 v84, 0x3f763a35, v97
	v_dual_add_f32 v71, v71, v77 :: v_dual_mul_f32 v98, 0x3f763a35, v99
	v_dual_add_f32 v58, v58, v75 :: v_dual_fmamk_f32 v77, v53, 0xbf7ba420, v100
	s_delay_alu instid0(VALU_DEP_1) | instskip(NEXT) | instid1(VALU_DEP_4)
	v_add_f32_e32 v77, v77, v78
	v_fma_f32 v78, 0xbe8c1d8e, v54, -v84
	v_fmac_f32_e32 v84, 0xbe8c1d8e, v54
	s_delay_alu instid0(VALU_DEP_2) | instskip(SKIP_1) | instid1(VALU_DEP_1)
	v_add_f32_e32 v78, v78, v88
	v_fma_f32 v88, 0xbe8c1d8e, v53, -v98
	v_add_f32_e32 v82, v88, v82
	v_fmac_f32_e32 v93, 0xbf1a4643, v54
	s_delay_alu instid0(VALU_DEP_1) | instskip(SKIP_2) | instid1(VALU_DEP_2)
	v_add_f32_e32 v62, v93, v62
	v_fma_f32 v93, 0xbf7ba420, v53, -v100
	v_dual_mul_f32 v100, 0xbeb8f4ab, v99 :: v_dual_add_f32 v81, v84, v81
	v_dual_mul_f32 v84, 0xbeb8f4ab, v97 :: v_dual_add_f32 v75, v93, v79
	v_fmamk_f32 v79, v53, 0xbe8c1d8e, v98
	v_dual_mul_f32 v93, 0x3f2c7751, v97 :: v_dual_mul_f32 v98, 0x3f2c7751, v99
	s_delay_alu instid0(VALU_DEP_2) | instskip(NEXT) | instid1(VALU_DEP_2)
	v_add_f32_e32 v69, v79, v69
	v_fma_f32 v79, 0x3f3d2fb0, v54, -v93
	s_delay_alu instid0(VALU_DEP_3) | instskip(NEXT) | instid1(VALU_DEP_2)
	v_fma_f32 v88, 0x3f3d2fb0, v53, -v98
	v_dual_add_f32 v79, v79, v86 :: v_dual_fmamk_f32 v86, v53, 0x3f3d2fb0, v98
	v_fma_f32 v98, 0x3f6eb680, v54, -v84
	s_delay_alu instid0(VALU_DEP_3)
	v_add_f32_e32 v68, v88, v68
	v_fmamk_f32 v88, v53, 0x3f6eb680, v100
	v_fmac_f32_e32 v84, 0x3f6eb680, v54
	v_add_f32_e32 v86, v86, v89
	v_mul_f32_e32 v89, 0xbf7ee86f, v97
	v_mul_f32_e32 v97, 0xbf06c442, v97
	v_add_f32_e32 v83, v88, v83
	v_add_f32_e32 v84, v84, v87
	s_delay_alu instid0(VALU_DEP_4) | instskip(SKIP_2) | instid1(VALU_DEP_3)
	v_fma_f32 v88, 0x3dbcf732, v54, -v89
	v_add_f32_e32 v85, v98, v85
	v_fma_f32 v98, 0x3f6eb680, v53, -v100
	v_add_f32_e32 v88, v88, v94
	v_fma_f32 v94, 0xbf59a7d5, v54, -v97
	s_delay_alu instid0(VALU_DEP_3) | instskip(SKIP_1) | instid1(VALU_DEP_1)
	v_add_f32_e32 v90, v98, v90
	v_fmac_f32_e32 v93, 0x3f3d2fb0, v54
	v_dual_add_f32 v80, v93, v80 :: v_dual_mul_f32 v93, 0xbf7ee86f, v99
	s_delay_alu instid0(VALU_DEP_1) | instskip(SKIP_1) | instid1(VALU_DEP_1)
	v_fmamk_f32 v87, v53, 0x3dbcf732, v93
	v_fma_f32 v93, 0x3dbcf732, v53, -v93
	v_add_f32_e32 v92, v93, v92
	v_add_f32_e32 v93, v94, v96
	v_dual_add_f32 v96, v50, v44 :: v_dual_fmac_f32 v89, 0x3dbcf732, v54
	s_delay_alu instid0(VALU_DEP_1) | instskip(SKIP_4) | instid1(VALU_DEP_1)
	v_dual_sub_f32 v44, v44, v50 :: v_dual_add_f32 v89, v89, v91
	v_sub_f32_e32 v91, v45, v51
	v_add_f32_e32 v45, v51, v45
	v_add_f32_e32 v87, v87, v95
	v_mul_f32_e32 v95, 0xbf06c442, v99
	v_fma_f32 v50, 0xbf59a7d5, v53, -v95
	v_fmamk_f32 v94, v53, 0xbf59a7d5, v95
	v_mul_f32_e32 v53, 0xbf7ee86f, v44
	v_mul_f32_e32 v95, 0x3eb8f4ab, v44
	s_delay_alu instid0(VALU_DEP_4) | instskip(NEXT) | instid1(VALU_DEP_4)
	v_dual_add_f32 v50, v50, v52 :: v_dual_fmac_f32 v97, 0xbf59a7d5, v54
	v_add_f32_e32 v54, v94, v57
	s_delay_alu instid0(VALU_DEP_4) | instskip(NEXT) | instid1(VALU_DEP_3)
	v_fmamk_f32 v52, v45, 0x3dbcf732, v53
	v_dual_add_f32 v57, v97, v60 :: v_dual_mul_f32 v60, 0xbe3c28d5, v91
	s_delay_alu instid0(VALU_DEP_2) | instskip(NEXT) | instid1(VALU_DEP_2)
	v_add_f32_e32 v52, v52, v61
	v_fma_f32 v61, 0xbf7ba420, v96, -v60
	v_fmac_f32_e32 v60, 0xbf7ba420, v96
	v_mul_f32_e32 v98, 0xbf7ee86f, v91
	v_mul_f32_e32 v94, 0x3f763a35, v91
	s_delay_alu instid0(VALU_DEP_3) | instskip(SKIP_1) | instid1(VALU_DEP_4)
	v_add_f32_e32 v60, v60, v62
	v_mul_f32_e32 v62, 0x3eb8f4ab, v91
	v_fma_f32 v51, 0x3dbcf732, v96, -v98
	v_fma_f32 v53, 0x3dbcf732, v45, -v53
	v_dual_add_f32 v59, v61, v59 :: v_dual_fmac_f32 v98, 0x3dbcf732, v96
	s_delay_alu instid0(VALU_DEP_3) | instskip(SKIP_1) | instid1(VALU_DEP_3)
	v_add_f32_e32 v51, v51, v63
	v_mul_f32_e32 v63, 0xbe3c28d5, v44
	v_dual_add_f32 v53, v53, v55 :: v_dual_add_f32 v56, v98, v56
	s_delay_alu instid0(VALU_DEP_2) | instskip(SKIP_2) | instid1(VALU_DEP_2)
	v_fmamk_f32 v55, v45, 0xbf7ba420, v63
	v_fma_f32 v61, 0xbf7ba420, v45, -v63
	v_fma_f32 v63, 0xbe8c1d8e, v96, -v94
	v_dual_fmac_f32 v94, 0xbe8c1d8e, v96 :: v_dual_add_f32 v61, v61, v71
	s_delay_alu instid0(VALU_DEP_2) | instskip(SKIP_2) | instid1(VALU_DEP_4)
	v_add_f32_e32 v63, v63, v76
	v_fma_f32 v76, 0x3f6eb680, v96, -v62
	v_fmac_f32_e32 v62, 0x3f6eb680, v96
	v_add_f32_e32 v58, v94, v58
	v_mul_f32_e32 v94, 0xbf65296c, v44
	s_delay_alu instid0(VALU_DEP_3) | instskip(SKIP_1) | instid1(VALU_DEP_3)
	v_dual_add_f32 v62, v62, v81 :: v_dual_add_f32 v55, v55, v70
	v_mul_f32_e32 v70, 0x3f763a35, v44
	v_fmamk_f32 v81, v45, 0x3ee437d1, v94
	s_delay_alu instid0(VALU_DEP_2) | instskip(SKIP_1) | instid1(VALU_DEP_3)
	v_fmamk_f32 v71, v45, 0xbe8c1d8e, v70
	v_fma_f32 v70, 0xbe8c1d8e, v45, -v70
	v_add_f32_e32 v81, v81, v86
	s_delay_alu instid0(VALU_DEP_2) | instskip(SKIP_3) | instid1(VALU_DEP_1)
	v_dual_add_f32 v71, v71, v77 :: v_dual_add_f32 v70, v70, v75
	v_dual_add_f32 v75, v76, v78 :: v_dual_fmamk_f32 v76, v45, 0x3f6eb680, v95
	v_mul_f32_e32 v77, 0xbf65296c, v91
	v_fma_f32 v78, 0x3f6eb680, v45, -v95
	v_dual_mul_f32 v95, 0x3f4c4adb, v44 :: v_dual_add_f32 v78, v78, v82
	s_delay_alu instid0(VALU_DEP_4) | instskip(NEXT) | instid1(VALU_DEP_4)
	v_dual_mul_f32 v82, 0xbf06c442, v91 :: v_dual_add_f32 v69, v76, v69
	v_fma_f32 v76, 0x3ee437d1, v96, -v77
	s_delay_alu instid0(VALU_DEP_2) | instskip(SKIP_1) | instid1(VALU_DEP_3)
	v_fma_f32 v86, 0xbf59a7d5, v96, -v82
	v_fmac_f32_e32 v82, 0xbf59a7d5, v96
	v_add_f32_e32 v76, v76, v79
	v_fma_f32 v79, 0x3ee437d1, v45, -v94
	v_mul_f32_e32 v94, 0xbf06c442, v44
	v_mul_f32_e32 v44, 0x3f2c7751, v44
	v_add_f32_e32 v82, v82, v84
	s_delay_alu instid0(VALU_DEP_4) | instskip(SKIP_2) | instid1(VALU_DEP_2)
	v_add_f32_e32 v68, v79, v68
	v_fmac_f32_e32 v77, 0x3ee437d1, v96
	v_mul_f32_e32 v79, 0x3f4c4adb, v91
	v_dual_add_f32 v77, v77, v80 :: v_dual_add_f32 v80, v86, v85
	v_fmamk_f32 v85, v45, 0xbf59a7d5, v94
	v_fma_f32 v86, 0xbf59a7d5, v45, -v94
	s_delay_alu instid0(VALU_DEP_4) | instskip(SKIP_1) | instid1(VALU_DEP_3)
	v_fma_f32 v94, 0xbf1a4643, v96, -v79
	v_fmac_f32_e32 v79, 0xbf1a4643, v96
	v_dual_add_f32 v83, v85, v83 :: v_dual_add_f32 v84, v86, v90
	s_delay_alu instid0(VALU_DEP_3) | instskip(SKIP_3) | instid1(VALU_DEP_3)
	v_dual_add_f32 v85, v94, v88 :: v_dual_mul_f32 v88, 0x3f2c7751, v91
	v_fmamk_f32 v91, v45, 0x3f3d2fb0, v44
	v_fma_f32 v44, 0x3f3d2fb0, v45, -v44
	v_add_f32_e32 v79, v79, v89
	v_add_f32_e32 v54, v91, v54
	s_delay_alu instid0(VALU_DEP_3) | instskip(SKIP_4) | instid1(VALU_DEP_4)
	v_add_f32_e32 v44, v44, v50
	v_fmamk_f32 v86, v45, 0xbf1a4643, v95
	v_fma_f32 v90, 0xbf1a4643, v45, -v95
	v_add_f32_e32 v45, v49, v47
	v_dual_add_f32 v91, v48, v46 :: v_dual_sub_f32 v46, v46, v48
	v_add_f32_e32 v86, v86, v87
	v_fma_f32 v87, 0x3f3d2fb0, v96, -v88
	v_dual_add_f32 v89, v90, v92 :: v_dual_sub_f32 v90, v47, v49
	v_fmac_f32_e32 v88, 0x3f3d2fb0, v96
	v_mul_f32_e32 v47, 0xbf763a35, v46
	s_delay_alu instid0(VALU_DEP_3) | instskip(NEXT) | instid1(VALU_DEP_2)
	v_dual_add_f32 v87, v87, v93 :: v_dual_mul_f32 v48, 0xbf763a35, v90
	v_dual_add_f32 v57, v88, v57 :: v_dual_fmamk_f32 v88, v45, 0xbe8c1d8e, v47
	v_mul_f32_e32 v50, 0x3f06c442, v90
	s_delay_alu instid0(VALU_DEP_3) | instskip(SKIP_1) | instid1(VALU_DEP_4)
	v_fma_f32 v49, 0xbe8c1d8e, v91, -v48
	v_fmac_f32_e32 v48, 0xbe8c1d8e, v91
	v_add_f32_e32 v52, v88, v52
	s_delay_alu instid0(VALU_DEP_3) | instskip(NEXT) | instid1(VALU_DEP_3)
	v_dual_mul_f32 v88, 0x3f06c442, v46 :: v_dual_add_f32 v49, v49, v51
	v_add_f32_e32 v48, v48, v56
	v_fma_f32 v47, 0xbe8c1d8e, v45, -v47
	v_fma_f32 v51, 0xbf59a7d5, v91, -v50
	v_fmac_f32_e32 v50, 0xbf59a7d5, v91
	s_delay_alu instid0(VALU_DEP_3) | instskip(NEXT) | instid1(VALU_DEP_2)
	v_dual_fmamk_f32 v56, v45, 0xbf59a7d5, v88 :: v_dual_add_f32 v47, v47, v53
	v_dual_mul_f32 v53, 0x3f2c7751, v90 :: v_dual_add_f32 v50, v50, v60
	s_delay_alu instid0(VALU_DEP_4) | instskip(SKIP_2) | instid1(VALU_DEP_4)
	v_add_f32_e32 v51, v51, v59
	v_fma_f32 v59, 0xbf59a7d5, v45, -v88
	v_mul_f32_e32 v88, 0x3f2c7751, v46
	v_fma_f32 v92, 0x3f3d2fb0, v91, -v53
	v_fmac_f32_e32 v53, 0x3f3d2fb0, v91
	s_delay_alu instid0(VALU_DEP_2) | instskip(NEXT) | instid1(VALU_DEP_4)
	v_add_f32_e32 v60, v92, v63
	v_fma_f32 v63, 0x3f3d2fb0, v45, -v88
	v_dual_add_f32 v55, v56, v55 :: v_dual_add_f32 v56, v59, v61
	v_fmamk_f32 v59, v45, 0x3f3d2fb0, v88
	v_mul_f32_e32 v61, 0xbf65296c, v90
	v_add_f32_e32 v53, v53, v58
	v_add_f32_e32 v58, v63, v70
	v_mul_f32_e32 v63, 0xbe3c28d5, v90
	v_add_f32_e32 v59, v59, v71
	v_mul_f32_e32 v71, 0xbf65296c, v46
	v_fma_f32 v88, 0x3ee437d1, v91, -v61
	v_fmac_f32_e32 v61, 0x3ee437d1, v91
	s_delay_alu instid0(VALU_DEP_2) | instskip(SKIP_2) | instid1(VALU_DEP_4)
	v_dual_fmamk_f32 v70, v45, 0x3ee437d1, v71 :: v_dual_add_f32 v75, v88, v75
	v_fma_f32 v71, 0x3ee437d1, v45, -v71
	v_fma_f32 v88, 0xbf7ba420, v91, -v63
	v_add_f32_e32 v61, v61, v62
	s_delay_alu instid0(VALU_DEP_4) | instskip(NEXT) | instid1(VALU_DEP_3)
	v_dual_add_f32 v69, v70, v69 :: v_dual_mul_f32 v70, 0xbe3c28d5, v46
	v_dual_add_f32 v62, v71, v78 :: v_dual_add_f32 v71, v88, v76
	v_mul_f32_e32 v76, 0x3f7ee86f, v90
	v_mul_f32_e32 v88, 0x3f7ee86f, v46
	s_delay_alu instid0(VALU_DEP_4) | instskip(SKIP_1) | instid1(VALU_DEP_4)
	v_fmamk_f32 v78, v45, 0xbf7ba420, v70
	v_fma_f32 v70, 0xbf7ba420, v45, -v70
	v_fma_f32 v92, 0x3dbcf732, v91, -v76
	v_fmac_f32_e32 v76, 0x3dbcf732, v91
	s_delay_alu instid0(VALU_DEP_4) | instskip(NEXT) | instid1(VALU_DEP_4)
	v_add_f32_e32 v78, v78, v81
	v_add_f32_e32 v68, v70, v68
	v_fmamk_f32 v70, v45, 0x3dbcf732, v88
	v_fma_f32 v81, 0x3dbcf732, v45, -v88
	v_add_f32_e32 v76, v76, v82
	v_mul_f32_e32 v82, 0xbf4c4adb, v90
	s_delay_alu instid0(VALU_DEP_4) | instskip(NEXT) | instid1(VALU_DEP_4)
	v_dual_add_f32 v70, v70, v83 :: v_dual_mul_f32 v83, 0xbeb8f4ab, v46
	v_add_f32_e32 v81, v81, v84
	s_delay_alu instid0(VALU_DEP_2) | instskip(NEXT) | instid1(VALU_DEP_1)
	v_fmamk_f32 v84, v45, 0x3f6eb680, v83
	v_dual_fmac_f32 v63, 0xbf7ba420, v91 :: v_dual_add_f32 v84, v84, v86
	s_delay_alu instid0(VALU_DEP_1)
	v_add_f32_e32 v63, v63, v77
	v_dual_add_f32 v77, v92, v80 :: v_dual_mul_f32 v80, 0xbeb8f4ab, v90
	v_sub_f32_e32 v86, v37, v43
	v_fma_f32 v83, 0x3f6eb680, v45, -v83
	v_add_f32_e32 v37, v43, v37
	v_add_f32_e32 v92, v11, v21
	v_fma_f32 v88, 0x3f6eb680, v91, -v80
	s_delay_alu instid0(VALU_DEP_1) | instskip(SKIP_1) | instid1(VALU_DEP_2)
	v_dual_add_f32 v85, v88, v85 :: v_dual_fmac_f32 v80, 0x3f6eb680, v91
	v_fma_f32 v88, 0xbf1a4643, v91, -v82
	v_dual_mul_f32 v46, 0xbf4c4adb, v46 :: v_dual_add_f32 v79, v80, v79
	s_delay_alu instid0(VALU_DEP_2) | instskip(NEXT) | instid1(VALU_DEP_2)
	v_dual_add_f32 v80, v83, v89 :: v_dual_add_f32 v83, v88, v87
	v_dual_fmamk_f32 v87, v45, 0xbf1a4643, v46 :: v_dual_sub_f32 v88, v36, v42
	v_fma_f32 v45, 0xbf1a4643, v45, -v46
	s_delay_alu instid0(VALU_DEP_2) | instskip(SKIP_1) | instid1(VALU_DEP_3)
	v_dual_add_f32 v46, v87, v54 :: v_dual_mul_f32 v43, 0xbf4c4adb, v88
	v_fmac_f32_e32 v82, 0xbf1a4643, v91
	v_add_f32_e32 v44, v45, v44
	v_add_f32_e32 v91, v10, v20
	s_delay_alu instid0(VALU_DEP_4) | instskip(SKIP_3) | instid1(VALU_DEP_4)
	v_fmamk_f32 v45, v37, 0xbf1a4643, v43
	v_fma_f32 v43, 0xbf1a4643, v37, -v43
	v_add_f32_e32 v36, v42, v36
	v_dual_mul_f32 v42, 0xbf4c4adb, v86 :: v_dual_add_f32 v57, v82, v57
	v_dual_mul_f32 v82, 0x3f763a35, v86 :: v_dual_add_f32 v45, v45, v52
	s_delay_alu instid0(VALU_DEP_4) | instskip(NEXT) | instid1(VALU_DEP_3)
	v_add_f32_e32 v43, v43, v47
	v_fma_f32 v54, 0xbf1a4643, v36, -v42
	v_mul_f32_e32 v87, 0xbeb8f4ab, v88
	s_delay_alu instid0(VALU_DEP_4) | instskip(SKIP_1) | instid1(VALU_DEP_4)
	v_fma_f32 v52, 0xbe8c1d8e, v36, -v82
	v_mul_f32_e32 v47, 0xbeb8f4ab, v86
	v_dual_add_f32 v49, v54, v49 :: v_dual_fmac_f32 v42, 0xbf1a4643, v36
	v_mul_f32_e32 v54, 0x3f763a35, v88
	s_delay_alu instid0(VALU_DEP_2) | instskip(NEXT) | instid1(VALU_DEP_2)
	v_add_f32_e32 v42, v42, v48
	v_dual_add_f32 v48, v52, v51 :: v_dual_fmamk_f32 v51, v37, 0xbe8c1d8e, v54
	s_delay_alu instid0(VALU_DEP_1) | instskip(SKIP_1) | instid1(VALU_DEP_1)
	v_add_f32_e32 v51, v51, v55
	v_fmamk_f32 v55, v37, 0x3f6eb680, v87
	v_add_f32_e32 v55, v55, v59
	v_fma_f32 v52, 0xbe8c1d8e, v37, -v54
	v_fma_f32 v54, 0x3f6eb680, v36, -v47
	v_fmac_f32_e32 v47, 0x3f6eb680, v36
	v_fmac_f32_e32 v82, 0xbe8c1d8e, v36
	s_delay_alu instid0(VALU_DEP_4)
	v_add_f32_e32 v52, v52, v56
	v_mul_f32_e32 v56, 0xbf06c442, v86
	v_add_f32_e32 v54, v54, v60
	v_fma_f32 v60, 0x3f6eb680, v37, -v87
	v_add_f32_e32 v47, v47, v53
	v_mul_f32_e32 v87, 0xbf2c7751, v88
	v_fma_f32 v59, 0xbf59a7d5, v36, -v56
	v_add_f32_e32 v50, v82, v50
	v_dual_mul_f32 v82, 0xbf06c442, v88 :: v_dual_add_f32 v53, v60, v58
	s_delay_alu instid0(VALU_DEP_3) | instskip(NEXT) | instid1(VALU_DEP_2)
	v_dual_mul_f32 v60, 0x3f7ee86f, v86 :: v_dual_add_f32 v59, v59, v75
	v_fmamk_f32 v58, v37, 0xbf59a7d5, v82
	v_fma_f32 v75, 0xbf59a7d5, v37, -v82
	v_mul_f32_e32 v82, 0x3f7ee86f, v88
	s_delay_alu instid0(VALU_DEP_3) | instskip(SKIP_1) | instid1(VALU_DEP_1)
	v_add_f32_e32 v58, v58, v69
	v_fma_f32 v69, 0x3dbcf732, v36, -v60
	v_dual_fmac_f32 v60, 0x3dbcf732, v36 :: v_dual_add_f32 v69, v69, v71
	v_fmac_f32_e32 v56, 0xbf59a7d5, v36
	s_delay_alu instid0(VALU_DEP_2) | instskip(NEXT) | instid1(VALU_DEP_2)
	v_dual_fmamk_f32 v71, v37, 0x3dbcf732, v82 :: v_dual_add_f32 v60, v60, v63
	v_dual_add_f32 v56, v56, v61 :: v_dual_add_f32 v61, v75, v62
	v_mul_f32_e32 v62, 0xbf2c7751, v86
	v_fma_f32 v75, 0x3dbcf732, v37, -v82
	s_delay_alu instid0(VALU_DEP_4) | instskip(NEXT) | instid1(VALU_DEP_3)
	v_dual_add_f32 v71, v71, v78 :: v_dual_mul_f32 v78, 0xbe3c28d5, v88
	v_fma_f32 v82, 0x3f3d2fb0, v36, -v62
	s_delay_alu instid0(VALU_DEP_3) | instskip(SKIP_1) | instid1(VALU_DEP_3)
	v_add_f32_e32 v63, v75, v68
	v_dual_fmamk_f32 v75, v37, 0x3f3d2fb0, v87 :: v_dual_fmac_f32 v62, 0x3f3d2fb0, v36
	v_dual_add_f32 v68, v82, v77 :: v_dual_mul_f32 v77, 0xbe3c28d5, v86
	v_fma_f32 v82, 0x3f3d2fb0, v37, -v87
	s_delay_alu instid0(VALU_DEP_3) | instskip(NEXT) | instid1(VALU_DEP_3)
	v_add_f32_e32 v70, v75, v70
	v_fma_f32 v75, 0xbf7ba420, v36, -v77
	v_fmac_f32_e32 v77, 0xbf7ba420, v36
	s_delay_alu instid0(VALU_DEP_4) | instskip(NEXT) | instid1(VALU_DEP_3)
	v_dual_add_f32 v81, v82, v81 :: v_dual_mul_f32 v82, 0x3f65296c, v86
	v_add_f32_e32 v75, v75, v85
	v_mul_f32_e32 v85, 0x3f65296c, v88
	v_add_f32_e32 v62, v62, v76
	v_fmamk_f32 v76, v37, 0xbf7ba420, v78
	v_fma_f32 v78, 0xbf7ba420, v37, -v78
	v_add_f32_e32 v77, v77, v79
	s_delay_alu instid0(VALU_DEP_3) | instskip(SKIP_1) | instid1(VALU_DEP_4)
	v_dual_sub_f32 v79, v39, v41 :: v_dual_add_f32 v76, v76, v84
	v_fma_f32 v84, 0x3ee437d1, v36, -v82
	v_add_f32_e32 v78, v78, v80
	v_fmac_f32_e32 v82, 0x3ee437d1, v36
	v_fma_f32 v36, 0x3ee437d1, v37, -v85
	v_mul_f32_e32 v86, 0xbf06c442, v79
	v_dual_add_f32 v80, v84, v83 :: v_dual_fmamk_f32 v83, v37, 0x3ee437d1, v85
	v_dual_add_f32 v37, v41, v39 :: v_dual_add_f32 v84, v40, v38
	v_sub_f32_e32 v38, v38, v40
	s_delay_alu instid0(VALU_DEP_3) | instskip(SKIP_2) | instid1(VALU_DEP_4)
	v_dual_add_f32 v36, v36, v44 :: v_dual_add_f32 v41, v83, v46
	v_add_f32_e32 v46, v82, v57
	v_mul_f32_e32 v82, 0xbf7ee86f, v79
	v_mul_f32_e32 v40, 0xbf06c442, v38
	;; [unrolled: 1-line block ×3, first 2 shown]
	s_delay_alu instid0(VALU_DEP_2) | instskip(SKIP_1) | instid1(VALU_DEP_1)
	v_fmamk_f32 v44, v37, 0xbf59a7d5, v40
	v_fma_f32 v40, 0xbf59a7d5, v37, -v40
	v_dual_add_f32 v40, v40, v43 :: v_dual_fmamk_f32 v43, v37, 0x3ee437d1, v57
	v_fma_f32 v39, 0xbf59a7d5, v84, -v86
	s_delay_alu instid0(VALU_DEP_2) | instskip(NEXT) | instid1(VALU_DEP_2)
	v_add_f32_e32 v43, v43, v51
	v_add_f32_e32 v39, v39, v49
	v_mul_f32_e32 v49, 0x3f65296c, v79
	v_fma_f32 v51, 0x3dbcf732, v84, -v82
	v_mul_f32_e32 v83, 0x3f4c4adb, v38
	s_delay_alu instid0(VALU_DEP_2) | instskip(NEXT) | instid1(VALU_DEP_4)
	v_dual_add_f32 v51, v51, v54 :: v_dual_add_f32 v44, v44, v45
	v_fma_f32 v45, 0x3ee437d1, v84, -v49
	v_fmac_f32_e32 v49, 0x3ee437d1, v84
	s_delay_alu instid0(VALU_DEP_2) | instskip(SKIP_2) | instid1(VALU_DEP_4)
	v_add_f32_e32 v45, v45, v48
	v_fma_f32 v48, 0x3ee437d1, v37, -v57
	v_mul_f32_e32 v57, 0xbf7ee86f, v38
	v_dual_add_f32 v49, v49, v50 :: v_dual_mul_f32 v50, 0x3f4c4adb, v79
	s_delay_alu instid0(VALU_DEP_3) | instskip(NEXT) | instid1(VALU_DEP_3)
	v_add_f32_e32 v48, v48, v52
	v_fmamk_f32 v52, v37, 0x3dbcf732, v57
	v_fma_f32 v54, 0x3dbcf732, v37, -v57
	v_fmac_f32_e32 v86, 0xbf59a7d5, v84
	v_fma_f32 v57, 0xbf1a4643, v84, -v50
	v_fmac_f32_e32 v50, 0xbf1a4643, v84
	s_delay_alu instid0(VALU_DEP_4) | instskip(NEXT) | instid1(VALU_DEP_4)
	v_dual_add_f32 v52, v52, v55 :: v_dual_add_f32 v53, v54, v53
	v_dual_add_f32 v42, v86, v42 :: v_dual_fmamk_f32 v55, v37, 0xbf1a4643, v83
	s_delay_alu instid0(VALU_DEP_4) | instskip(SKIP_2) | instid1(VALU_DEP_4)
	v_add_f32_e32 v54, v57, v59
	v_mul_f32_e32 v57, 0xbeb8f4ab, v79
	v_fma_f32 v59, 0xbf1a4643, v37, -v83
	v_dual_add_f32 v50, v50, v56 :: v_dual_add_f32 v55, v55, v58
	v_mul_f32_e32 v83, 0x3f2c7751, v38
	s_delay_alu instid0(VALU_DEP_4) | instskip(NEXT) | instid1(VALU_DEP_4)
	v_fma_f32 v58, 0x3f6eb680, v84, -v57
	v_dual_fmac_f32 v57, 0x3f6eb680, v84 :: v_dual_add_f32 v56, v59, v61
	s_delay_alu instid0(VALU_DEP_2) | instskip(NEXT) | instid1(VALU_DEP_2)
	v_dual_mul_f32 v61, 0xbe3c28d5, v79 :: v_dual_add_f32 v58, v58, v69
	v_add_f32_e32 v57, v57, v60
	v_fmac_f32_e32 v82, 0x3dbcf732, v84
	s_delay_alu instid0(VALU_DEP_1) | instskip(NEXT) | instid1(VALU_DEP_1)
	v_dual_add_f32 v47, v82, v47 :: v_dual_mul_f32 v82, 0xbeb8f4ab, v38
	v_fmamk_f32 v59, v37, 0x3f6eb680, v82
	v_fma_f32 v69, 0x3f6eb680, v37, -v82
	v_mul_f32_e32 v82, 0xbe3c28d5, v38
	s_delay_alu instid0(VALU_DEP_3) | instskip(SKIP_1) | instid1(VALU_DEP_4)
	v_dual_mul_f32 v38, 0xbf763a35, v38 :: v_dual_add_f32 v59, v59, v71
	v_fma_f32 v71, 0xbf7ba420, v84, -v61
	v_dual_add_f32 v60, v69, v63 :: v_dual_fmac_f32 v61, 0xbf7ba420, v84
	v_mul_f32_e32 v63, 0x3f2c7751, v79
	s_delay_alu instid0(VALU_DEP_3) | instskip(SKIP_1) | instid1(VALU_DEP_4)
	v_dual_fmamk_f32 v69, v37, 0xbf7ba420, v82 :: v_dual_add_f32 v68, v71, v68
	v_fma_f32 v71, 0xbf7ba420, v37, -v82
	v_add_f32_e32 v61, v61, v62
	s_delay_alu instid0(VALU_DEP_4) | instskip(NEXT) | instid1(VALU_DEP_4)
	v_fma_f32 v82, 0x3f3d2fb0, v84, -v63
	v_add_f32_e32 v69, v69, v70
	s_delay_alu instid0(VALU_DEP_4) | instskip(NEXT) | instid1(VALU_DEP_3)
	v_dual_fmac_f32 v63, 0x3f3d2fb0, v84 :: v_dual_add_f32 v62, v71, v81
	v_dual_fmamk_f32 v71, v37, 0x3f3d2fb0, v83 :: v_dual_add_f32 v70, v82, v75
	v_mul_f32_e32 v75, 0xbf763a35, v79
	v_fma_f32 v79, 0x3f3d2fb0, v37, -v83
	s_delay_alu instid0(VALU_DEP_4) | instskip(NEXT) | instid1(VALU_DEP_4)
	v_add_f32_e32 v63, v63, v77
	v_add_f32_e32 v71, v71, v76
	v_add_f32_e32 v82, v35, v33
	v_fma_f32 v76, 0xbe8c1d8e, v84, -v75
	v_fmamk_f32 v81, v37, 0xbe8c1d8e, v38
	v_dual_add_f32 v77, v79, v78 :: v_dual_sub_f32 v78, v33, v35
	v_fmac_f32_e32 v75, 0xbe8c1d8e, v84
	s_delay_alu instid0(VALU_DEP_3) | instskip(SKIP_1) | instid1(VALU_DEP_4)
	v_dual_add_f32 v76, v76, v80 :: v_dual_add_f32 v79, v81, v41
	v_dual_add_f32 v80, v34, v32 :: v_dual_sub_f32 v81, v32, v34
	v_mul_f32_e32 v32, 0xbe3c28d5, v78
	v_fma_f32 v34, 0xbe8c1d8e, v37, -v38
	v_add_f32_e32 v85, v75, v46
	v_add_f32_e32 v83, v64, v2
	v_mul_f32_e32 v33, 0xbe3c28d5, v81
	v_fma_f32 v35, 0xbf7ba420, v80, -v32
	v_add_f32_e32 v86, v34, v36
	v_mul_f32_e32 v46, 0x3f2c7751, v81
	s_delay_alu instid0(VALU_DEP_3) | instskip(SKIP_2) | instid1(VALU_DEP_3)
	v_dual_fmamk_f32 v37, v82, 0xbf7ba420, v33 :: v_dual_add_f32 v36, v35, v39
	v_mul_f32_e32 v34, 0x3eb8f4ab, v78
	v_fma_f32 v33, 0xbf7ba420, v82, -v33
	v_dual_mul_f32 v38, 0x3eb8f4ab, v81 :: v_dual_add_f32 v37, v37, v44
	v_mul_f32_e32 v39, 0xbf06c442, v78
	s_delay_alu instid0(VALU_DEP_4) | instskip(NEXT) | instid1(VALU_DEP_4)
	v_fma_f32 v35, 0x3f6eb680, v80, -v34
	v_add_f32_e32 v33, v33, v40
	s_delay_alu instid0(VALU_DEP_3) | instskip(NEXT) | instid1(VALU_DEP_3)
	v_fma_f32 v44, 0xbf59a7d5, v80, -v39
	v_dual_add_f32 v40, v35, v45 :: v_dual_fmamk_f32 v35, v82, 0x3f6eb680, v38
	v_fma_f32 v38, 0x3f6eb680, v82, -v38
	s_delay_alu instid0(VALU_DEP_3) | instskip(NEXT) | instid1(VALU_DEP_3)
	v_dual_fmac_f32 v39, 0xbf59a7d5, v80 :: v_dual_add_f32 v44, v44, v51
	v_dual_fmac_f32 v32, 0xbf7ba420, v80 :: v_dual_add_f32 v41, v35, v43
	s_delay_alu instid0(VALU_DEP_3) | instskip(SKIP_1) | instid1(VALU_DEP_3)
	v_add_f32_e32 v35, v38, v48
	v_mul_f32_e32 v43, 0x3f2c7751, v78
	v_add_f32_e32 v32, v32, v42
	v_mul_f32_e32 v42, 0xbf06c442, v81
	s_delay_alu instid0(VALU_DEP_3) | instskip(SKIP_1) | instid1(VALU_DEP_3)
	v_fma_f32 v48, 0x3f3d2fb0, v80, -v43
	v_fmac_f32_e32 v43, 0x3f3d2fb0, v80
	v_fmamk_f32 v38, v82, 0xbf59a7d5, v42
	s_delay_alu instid0(VALU_DEP_1) | instskip(SKIP_4) | instid1(VALU_DEP_4)
	v_add_f32_e32 v45, v38, v52
	v_fma_f32 v42, 0xbf59a7d5, v82, -v42
	v_fmac_f32_e32 v34, 0x3f6eb680, v80
	v_dual_add_f32 v38, v39, v47 :: v_dual_mul_f32 v47, 0xbf4c4adb, v78
	v_mul_f32_e32 v52, 0xbf4c4adb, v81
	v_add_f32_e32 v39, v42, v53
	s_delay_alu instid0(VALU_DEP_4) | instskip(SKIP_4) | instid1(VALU_DEP_4)
	v_add_f32_e32 v34, v34, v49
	v_fmamk_f32 v42, v82, 0x3f3d2fb0, v46
	v_fma_f32 v51, 0xbf1a4643, v80, -v47
	v_fmac_f32_e32 v47, 0xbf1a4643, v80
	v_mul_f32_e32 v53, 0x3f65296c, v78
	v_add_f32_e32 v49, v42, v55
	v_fma_f32 v46, 0x3f3d2fb0, v82, -v46
	v_add_f32_e32 v48, v48, v54
	v_add_f32_e32 v42, v43, v50
	v_dual_add_f32 v50, v51, v58 :: v_dual_mul_f32 v55, 0x3f65296c, v81
	s_delay_alu instid0(VALU_DEP_4) | instskip(SKIP_2) | instid1(VALU_DEP_2)
	v_add_f32_e32 v43, v46, v56
	v_fmamk_f32 v46, v82, 0xbf1a4643, v52
	v_mul_f32_e32 v56, 0xbf763a35, v78
	v_dual_mul_f32 v58, 0xbf763a35, v81 :: v_dual_add_f32 v51, v46, v59
	v_fma_f32 v52, 0xbf1a4643, v82, -v52
	v_add_f32_e32 v46, v47, v57
	v_fma_f32 v54, 0x3ee437d1, v80, -v53
	v_fma_f32 v57, 0x3ee437d1, v82, -v55
	;; [unrolled: 1-line block ×3, first 2 shown]
	v_dual_add_f32 v47, v52, v60 :: v_dual_fmamk_f32 v52, v82, 0x3ee437d1, v55
	v_fmac_f32_e32 v53, 0x3ee437d1, v80
	v_add_f32_e32 v54, v54, v68
	s_delay_alu instid0(VALU_DEP_4) | instskip(NEXT) | instid1(VALU_DEP_4)
	v_add_f32_e32 v68, v59, v70
	v_dual_mul_f32 v60, 0x3f7ee86f, v78 :: v_dual_add_f32 v55, v52, v69
	s_delay_alu instid0(VALU_DEP_4) | instskip(SKIP_4) | instid1(VALU_DEP_3)
	v_add_f32_e32 v52, v53, v61
	v_add_f32_e32 v53, v57, v62
	v_fmamk_f32 v57, v82, 0xbe8c1d8e, v58
	v_mul_f32_e32 v61, 0x3f7ee86f, v81
	v_fma_f32 v59, 0x3dbcf732, v80, -v60
	v_dual_fmac_f32 v60, 0x3dbcf732, v80 :: v_dual_add_f32 v69, v57, v71
	v_fmac_f32_e32 v56, 0xbe8c1d8e, v80
	s_delay_alu instid0(VALU_DEP_2) | instskip(NEXT) | instid1(VALU_DEP_2)
	v_add_f32_e32 v70, v60, v85
	v_dual_add_f32 v56, v56, v63 :: v_dual_sub_f32 v63, v2, v64
	v_fma_f32 v58, 0xbe8c1d8e, v82, -v58
	s_delay_alu instid0(VALU_DEP_1)
	v_dual_mul_f32 v80, 0xbf2c7751, v63 :: v_dual_add_f32 v57, v58, v77
	v_dual_add_f32 v58, v59, v76 :: v_dual_fmamk_f32 v59, v82, 0x3dbcf732, v61
	v_fma_f32 v61, 0x3dbcf732, v82, -v61
	v_sub_f32_e32 v62, v3, v65
	v_mul_f32_e32 v76, 0xbeb8f4ab, v63
	v_mul_f32_e32 v89, 0xbf7ee86f, v63
	v_add_f32_e32 v59, v59, v79
	v_add_f32_e32 v71, v61, v86
	v_dual_add_f32 v84, v65, v3 :: v_dual_mul_f32 v75, 0xbeb8f4ab, v62
	v_mul_f32_e32 v77, 0xbf2c7751, v62
	v_dual_mul_f32 v81, 0xbf65296c, v62 :: v_dual_mul_f32 v82, 0xbf65296c, v63
	s_delay_alu instid0(VALU_DEP_3) | instskip(NEXT) | instid1(VALU_DEP_2)
	v_fma_f32 v79, 0x3f6eb680, v84, -v76
	v_fma_f32 v87, 0x3ee437d1, v84, -v82
	s_delay_alu instid0(VALU_DEP_2) | instskip(SKIP_1) | instid1(VALU_DEP_3)
	v_add_f32_e32 v61, v79, v1
	v_mul_f32_e32 v79, 0xbf7ee86f, v62
	v_add_f32_e32 v87, v87, v1
	s_delay_alu instid0(VALU_DEP_2) | instskip(NEXT) | instid1(VALU_DEP_1)
	v_fma_f32 v88, 0x3dbcf732, v83, -v79
	v_dual_fmamk_f32 v78, v83, 0x3f6eb680, v75 :: v_dual_add_f32 v95, v88, v0
	s_delay_alu instid0(VALU_DEP_1) | instskip(SKIP_1) | instid1(VALU_DEP_1)
	v_add_f32_e32 v60, v78, v0
	v_fmamk_f32 v78, v83, 0x3f3d2fb0, v77
	v_add_f32_e32 v86, v78, v0
	v_fma_f32 v78, 0x3f3d2fb0, v84, -v80
	v_fmac_f32_e32 v79, 0x3dbcf732, v83
	s_delay_alu instid0(VALU_DEP_2) | instskip(NEXT) | instid1(VALU_DEP_2)
	v_dual_add_f32 v93, v78, v1 :: v_dual_fmamk_f32 v78, v84, 0x3dbcf732, v89
	v_add_f32_e32 v97, v79, v0
	s_delay_alu instid0(VALU_DEP_2) | instskip(NEXT) | instid1(VALU_DEP_1)
	v_dual_fmamk_f32 v85, v83, 0x3ee437d1, v81 :: v_dual_add_f32 v96, v78, v1
	v_add_f32_e32 v94, v85, v0
	v_fma_f32 v88, 0x3dbcf732, v84, -v89
	v_mul_f32_e32 v85, 0xbf763a35, v62
	s_delay_alu instid0(VALU_DEP_2) | instskip(NEXT) | instid1(VALU_DEP_2)
	v_dual_mul_f32 v89, 0xbf763a35, v63 :: v_dual_add_f32 v98, v88, v1
	v_fma_f32 v78, 0xbe8c1d8e, v83, -v85
	s_delay_alu instid0(VALU_DEP_2) | instskip(NEXT) | instid1(VALU_DEP_2)
	v_fmamk_f32 v79, v84, 0xbe8c1d8e, v89
	v_dual_mul_f32 v88, 0xbf4c4adb, v62 :: v_dual_add_f32 v99, v78, v0
	s_delay_alu instid0(VALU_DEP_2) | instskip(SKIP_1) | instid1(VALU_DEP_3)
	v_add_f32_e32 v100, v79, v1
	v_fma_f32 v78, 0xbe8c1d8e, v84, -v89
	v_fma_f32 v79, 0xbf1a4643, v83, -v88
	v_mul_f32_e32 v89, 0xbf4c4adb, v63
	v_fmac_f32_e32 v88, 0xbf1a4643, v83
	s_delay_alu instid0(VALU_DEP_4) | instskip(NEXT) | instid1(VALU_DEP_4)
	v_dual_fmac_f32 v85, 0xbe8c1d8e, v83 :: v_dual_add_f32 v102, v78, v1
	v_dual_mul_f32 v78, 0xbf06c442, v62 :: v_dual_add_f32 v103, v79, v0
	s_delay_alu instid0(VALU_DEP_4)
	v_fmamk_f32 v79, v84, 0xbf1a4643, v89
	v_mul_f32_e32 v90, 0xbf06c442, v63
	v_add_f32_e32 v142, v88, v0
	v_add_f32_e32 v101, v85, v0
	v_fma_f32 v85, 0xbf1a4643, v84, -v89
	v_add_f32_e32 v141, v79, v1
	v_fmamk_f32 v79, v84, 0xbf59a7d5, v90
	v_mul_f32_e32 v62, 0xbe3c28d5, v62
	v_fma_f32 v89, 0xbf59a7d5, v83, -v78
	v_add_f32_e32 v143, v85, v1
	v_mul_f32_e32 v63, 0xbe3c28d5, v63
	v_dual_fmac_f32 v78, 0xbf59a7d5, v83 :: v_dual_add_f32 v145, v79, v1
	v_fma_f32 v79, 0xbf7ba420, v83, -v62
	v_fma_f32 v85, 0xbf59a7d5, v84, -v90
	s_delay_alu instid0(VALU_DEP_4) | instskip(NEXT) | instid1(VALU_DEP_4)
	v_fmamk_f32 v88, v84, 0xbf7ba420, v63
	v_add_f32_e32 v146, v78, v0
	v_mul_f32_e32 v78, 0xbf2c7751, v148
	v_dual_add_f32 v149, v79, v0 :: v_dual_fmac_f32 v62, 0xbf7ba420, v83
	v_dual_mul_f32 v79, 0xbf2c7751, v151 :: v_dual_add_f32 v144, v89, v0
	v_add_f32_e32 v147, v85, v1
	v_add_f32_e32 v150, v88, v1
	s_delay_alu instid0(VALU_DEP_4) | instskip(SKIP_4) | instid1(VALU_DEP_3)
	v_add_f32_e32 v62, v62, v0
	v_fma_f32 v63, 0xbf7ba420, v84, -v63
	v_fma_f32 v89, 0x3f3d2fb0, v92, -v79
	v_fmamk_f32 v88, v91, 0x3f3d2fb0, v78
	v_mul_f32_e32 v85, 0xbf7ee86f, v148
	v_dual_mul_f32 v90, 0xbf4c4adb, v151 :: v_dual_add_f32 v61, v89, v61
	s_delay_alu instid0(VALU_DEP_3) | instskip(SKIP_2) | instid1(VALU_DEP_4)
	v_dual_add_f32 v63, v63, v1 :: v_dual_add_f32 v60, v88, v60
	v_mul_f32_e32 v88, 0xbf7ee86f, v151
	v_mul_f32_e32 v89, 0xbf4c4adb, v148
	v_fma_f32 v155, 0xbf1a4643, v92, -v90
	s_delay_alu instid0(VALU_DEP_3) | instskip(NEXT) | instid1(VALU_DEP_1)
	v_fma_f32 v153, 0x3dbcf732, v92, -v88
	v_dual_fmamk_f32 v152, v91, 0x3dbcf732, v85 :: v_dual_add_f32 v153, v153, v93
	s_delay_alu instid0(VALU_DEP_1) | instskip(SKIP_1) | instid1(VALU_DEP_1)
	v_dual_add_f32 v152, v152, v86 :: v_dual_mul_f32 v93, 0xbe3c28d5, v151
	v_mul_f32_e32 v86, 0xbe3c28d5, v148
	v_fma_f32 v156, 0xbf7ba420, v91, -v86
	s_delay_alu instid0(VALU_DEP_1) | instskip(SKIP_1) | instid1(VALU_DEP_1)
	v_add_f32_e32 v95, v156, v95
	v_fmac_f32_e32 v86, 0xbf7ba420, v91
	v_dual_fmamk_f32 v154, v91, 0xbf1a4643, v89 :: v_dual_add_f32 v157, v86, v97
	s_delay_alu instid0(VALU_DEP_1) | instskip(SKIP_4) | instid1(VALU_DEP_4)
	v_add_f32_e32 v94, v154, v94
	v_dual_add_f32 v154, v155, v87 :: v_dual_fmamk_f32 v155, v92, 0xbf7ba420, v93
	v_fma_f32 v93, 0xbf7ba420, v92, -v93
	v_mul_f32_e32 v87, 0x3f06c442, v148
	v_dual_mul_f32 v86, 0x3f763a35, v148 :: v_dual_mul_f32 v97, 0x3f763a35, v151
	v_dual_add_f32 v155, v155, v96 :: v_dual_mul_f32 v96, 0x3f06c442, v151
	s_delay_alu instid0(VALU_DEP_4) | instskip(NEXT) | instid1(VALU_DEP_4)
	v_add_f32_e32 v158, v93, v98
	v_fma_f32 v156, 0xbf59a7d5, v91, -v87
	s_delay_alu instid0(VALU_DEP_4) | instskip(SKIP_2) | instid1(VALU_DEP_3)
	v_fma_f32 v98, 0xbe8c1d8e, v91, -v86
	v_fmac_f32_e32 v86, 0xbe8c1d8e, v91
	v_fmamk_f32 v93, v92, 0xbf59a7d5, v96
	v_add_f32_e32 v103, v98, v103
	s_delay_alu instid0(VALU_DEP_2) | instskip(SKIP_3) | instid1(VALU_DEP_3)
	v_dual_add_f32 v142, v86, v142 :: v_dual_add_f32 v159, v93, v100
	v_fma_f32 v96, 0xbf59a7d5, v92, -v96
	v_fmac_f32_e32 v87, 0xbf59a7d5, v91
	v_dual_mul_f32 v93, 0x3f65296c, v148 :: v_dual_add_f32 v100, v9, v23
	v_add_f32_e32 v102, v96, v102
	s_delay_alu instid0(VALU_DEP_3)
	v_dual_add_f32 v156, v156, v99 :: v_dual_add_f32 v101, v87, v101
	v_fmamk_f32 v87, v92, 0xbe8c1d8e, v97
	v_fma_f32 v96, 0xbe8c1d8e, v92, -v97
	v_fma_f32 v86, 0x3ee437d1, v91, -v93
	v_fmac_f32_e32 v93, 0x3ee437d1, v91
	v_add_f32_e32 v99, v8, v22
	v_add_f32_e32 v141, v87, v141
	v_mul_f32_e32 v87, 0x3f65296c, v151
	v_dual_add_f32 v143, v96, v143 :: v_dual_mul_f32 v96, 0x3eb8f4ab, v148
	v_add_f32_e32 v144, v86, v144
	s_delay_alu instid0(VALU_DEP_3) | instskip(SKIP_1) | instid1(VALU_DEP_4)
	v_dual_add_f32 v146, v93, v146 :: v_dual_fmamk_f32 v97, v92, 0x3ee437d1, v87
	v_fma_f32 v86, 0x3ee437d1, v92, -v87
	v_fma_f32 v87, 0x3f6eb680, v91, -v96
	v_fmac_f32_e32 v96, 0x3f6eb680, v91
	v_mul_f32_e32 v93, 0x3eb8f4ab, v151
	v_add_f32_e32 v145, v97, v145
	s_delay_alu instid0(VALU_DEP_4) | instskip(SKIP_3) | instid1(VALU_DEP_3)
	v_add_f32_e32 v148, v87, v149
	v_sub_f32_e32 v149, v23, v9
	v_dual_add_f32 v147, v86, v147 :: v_dual_add_f32 v62, v96, v62
	v_fmamk_f32 v97, v92, 0x3f6eb680, v93
	v_dual_mul_f32 v86, 0xbf65296c, v149 :: v_dual_sub_f32 v151, v22, v8
	s_delay_alu instid0(VALU_DEP_2) | instskip(SKIP_1) | instid1(VALU_DEP_3)
	v_add_f32_e32 v150, v97, v150
	v_fma_f32 v97, 0x3f6eb680, v92, -v93
	v_fmamk_f32 v98, v99, 0x3ee437d1, v86
	s_delay_alu instid0(VALU_DEP_4) | instskip(SKIP_2) | instid1(VALU_DEP_4)
	v_mul_f32_e32 v87, 0xbf65296c, v151
	v_mul_f32_e32 v165, 0x3f763a35, v151
	;; [unrolled: 1-line block ×3, first 2 shown]
	v_add_f32_e32 v60, v98, v60
	s_delay_alu instid0(VALU_DEP_4) | instskip(NEXT) | instid1(VALU_DEP_1)
	v_fma_f32 v160, 0x3ee437d1, v100, -v87
	v_dual_mul_f32 v98, 0x3e3c28d5, v151 :: v_dual_add_f32 v61, v160, v61
	s_delay_alu instid0(VALU_DEP_1) | instskip(NEXT) | instid1(VALU_DEP_1)
	v_fma_f32 v163, 0xbf7ba420, v100, -v98
	v_dual_mul_f32 v93, 0xbf4c4adb, v149 :: v_dual_add_f32 v154, v163, v154
	v_fma_f32 v163, 0xbe8c1d8e, v100, -v165
	v_mul_f32_e32 v161, 0x3f763a35, v149
	s_delay_alu instid0(VALU_DEP_3) | instskip(NEXT) | instid1(VALU_DEP_3)
	v_dual_add_f32 v63, v97, v63 :: v_dual_fmamk_f32 v160, v99, 0xbf1a4643, v93
	v_add_f32_e32 v158, v163, v158
	s_delay_alu instid0(VALU_DEP_3) | instskip(NEXT) | instid1(VALU_DEP_3)
	v_fma_f32 v164, 0xbe8c1d8e, v99, -v161
	v_dual_mul_f32 v97, 0x3e3c28d5, v149 :: v_dual_add_f32 v152, v160, v152
	v_fma_f32 v160, 0xbf1a4643, v100, -v96
	v_fmac_f32_e32 v161, 0xbe8c1d8e, v99
	v_mul_f32_e32 v163, 0xbeb8f4ab, v149
	s_delay_alu instid0(VALU_DEP_3) | instskip(NEXT) | instid1(VALU_DEP_1)
	v_dual_fmamk_f32 v162, v99, 0xbf7ba420, v97 :: v_dual_add_f32 v153, v160, v153
	v_dual_add_f32 v157, v161, v157 :: v_dual_add_f32 v160, v162, v94
	v_add_f32_e32 v162, v164, v95
	v_fmamk_f32 v94, v100, 0xbe8c1d8e, v165
	v_dual_mul_f32 v95, 0x3f2c7751, v149 :: v_dual_mul_f32 v164, 0x3f2c7751, v151
	s_delay_alu instid0(VALU_DEP_2) | instskip(NEXT) | instid1(VALU_DEP_2)
	v_add_f32_e32 v155, v94, v155
	v_fma_f32 v94, 0x3f3d2fb0, v99, -v95
	s_delay_alu instid0(VALU_DEP_1) | instskip(NEXT) | instid1(VALU_DEP_4)
	v_add_f32_e32 v156, v94, v156
	v_fma_f32 v94, 0x3f3d2fb0, v100, -v164
	v_fmamk_f32 v161, v100, 0x3f3d2fb0, v164
	v_mul_f32_e32 v164, 0xbeb8f4ab, v151
	s_delay_alu instid0(VALU_DEP_2) | instskip(SKIP_4) | instid1(VALU_DEP_3)
	v_dual_add_f32 v102, v94, v102 :: v_dual_add_f32 v159, v161, v159
	v_fma_f32 v161, 0x3f6eb680, v99, -v163
	v_fmac_f32_e32 v163, 0x3f6eb680, v99
	v_fmac_f32_e32 v95, 0x3f3d2fb0, v99
	v_mul_f32_e32 v94, 0xbf7ee86f, v149
	v_add_f32_e32 v142, v163, v142
	s_delay_alu instid0(VALU_DEP_3) | instskip(SKIP_1) | instid1(VALU_DEP_2)
	v_dual_add_f32 v174, v95, v101 :: v_dual_fmamk_f32 v95, v100, 0x3f6eb680, v164
	v_fma_f32 v101, 0x3f6eb680, v100, -v164
	v_dual_mul_f32 v164, 0xbf7ee86f, v151 :: v_dual_add_f32 v141, v95, v141
	s_delay_alu instid0(VALU_DEP_2) | instskip(NEXT) | instid1(VALU_DEP_2)
	v_add_f32_e32 v143, v101, v143
	v_fmamk_f32 v95, v100, 0x3dbcf732, v164
	v_mul_f32_e32 v101, 0xbf06c442, v149
	v_mul_f32_e32 v149, 0xbf06c442, v151
	v_fma_f32 v151, 0x3dbcf732, v100, -v164
	s_delay_alu instid0(VALU_DEP_1)
	v_add_f32_e32 v147, v151, v147
	v_sub_f32_e32 v151, v29, v7
	v_add_f32_e32 v145, v95, v145
	v_fma_f32 v95, 0xbf59a7d5, v99, -v101
	v_add_f32_e32 v103, v161, v103
	v_fma_f32 v161, 0x3dbcf732, v99, -v94
	v_dual_add_f32 v175, v6, v28 :: v_dual_fmac_f32 v94, 0x3dbcf732, v99
	s_delay_alu instid0(VALU_DEP_4) | instskip(NEXT) | instid1(VALU_DEP_3)
	v_add_f32_e32 v148, v95, v148
	v_dual_add_f32 v144, v161, v144 :: v_dual_mul_f32 v165, 0x3f763a35, v151
	s_delay_alu instid0(VALU_DEP_1) | instskip(NEXT) | instid1(VALU_DEP_1)
	v_fmamk_f32 v177, v175, 0xbe8c1d8e, v165
	v_dual_add_f32 v160, v177, v160 :: v_dual_fmamk_f32 v161, v100, 0xbf59a7d5, v149
	v_fma_f32 v149, 0xbf59a7d5, v100, -v149
	s_delay_alu instid0(VALU_DEP_2) | instskip(SKIP_2) | instid1(VALU_DEP_2)
	v_add_f32_e32 v150, v161, v150
	v_sub_f32_e32 v161, v28, v6
	v_add_f32_e32 v146, v94, v146
	v_dual_mul_f32 v94, 0xbf7ee86f, v151 :: v_dual_mul_f32 v95, 0xbf7ee86f, v161
	v_mul_f32_e32 v166, 0x3f763a35, v161
	s_delay_alu instid0(VALU_DEP_2) | instskip(NEXT) | instid1(VALU_DEP_3)
	v_fmamk_f32 v163, v175, 0x3dbcf732, v94
	v_fma_f32 v164, 0x3dbcf732, v176, -v95
	s_delay_alu instid0(VALU_DEP_3) | instskip(NEXT) | instid1(VALU_DEP_3)
	v_fma_f32 v178, 0xbe8c1d8e, v176, -v166
	v_dual_add_f32 v60, v163, v60 :: v_dual_mul_f32 v163, 0xbe3c28d5, v161
	v_fmac_f32_e32 v101, 0xbf59a7d5, v99
	s_delay_alu instid0(VALU_DEP_3) | instskip(NEXT) | instid1(VALU_DEP_3)
	v_dual_add_f32 v61, v164, v61 :: v_dual_add_f32 v154, v178, v154
	v_fma_f32 v164, 0xbf7ba420, v176, -v163
	s_delay_alu instid0(VALU_DEP_1) | instskip(SKIP_4) | instid1(VALU_DEP_4)
	v_dual_add_f32 v62, v101, v62 :: v_dual_add_f32 v153, v164, v153
	v_mul_f32_e32 v164, 0x3eb8f4ab, v161
	v_mul_f32_e32 v101, 0xbe3c28d5, v151
	v_add_f32_e32 v63, v149, v63
	v_mul_f32_e32 v177, 0xbf65296c, v151
	v_fmamk_f32 v178, v176, 0x3f6eb680, v164
	s_delay_alu instid0(VALU_DEP_4) | instskip(SKIP_1) | instid1(VALU_DEP_3)
	v_fmamk_f32 v149, v175, 0xbf7ba420, v101
	v_fma_f32 v164, 0x3f6eb680, v176, -v164
	v_add_f32_e32 v155, v178, v155
	s_delay_alu instid0(VALU_DEP_3) | instskip(SKIP_1) | instid1(VALU_DEP_1)
	v_dual_add_f32 v149, v149, v152 :: v_dual_mul_f32 v178, 0xbf65296c, v161
	v_mul_f32_e32 v152, 0x3eb8f4ab, v151
	v_fma_f32 v179, 0x3f6eb680, v175, -v152
	v_fmac_f32_e32 v152, 0x3f6eb680, v175
	s_delay_alu instid0(VALU_DEP_2) | instskip(SKIP_1) | instid1(VALU_DEP_3)
	v_add_f32_e32 v162, v179, v162
	v_fma_f32 v179, 0x3ee437d1, v175, -v177
	v_add_f32_e32 v152, v152, v157
	v_add_f32_e32 v157, v164, v158
	v_dual_fmamk_f32 v164, v176, 0x3ee437d1, v178 :: v_dual_fmac_f32 v177, 0x3ee437d1, v175
	s_delay_alu instid0(VALU_DEP_4) | instskip(SKIP_2) | instid1(VALU_DEP_4)
	v_add_f32_e32 v156, v179, v156
	v_fma_f32 v178, 0x3ee437d1, v176, -v178
	v_dual_mul_f32 v179, 0xbf06c442, v161 :: v_dual_mul_f32 v158, 0xbf06c442, v151
	v_dual_add_f32 v174, v177, v174 :: v_dual_add_f32 v159, v164, v159
	s_delay_alu instid0(VALU_DEP_2) | instskip(SKIP_1) | instid1(VALU_DEP_4)
	v_dual_add_f32 v177, v178, v102 :: v_dual_fmamk_f32 v102, v176, 0xbf59a7d5, v179
	v_fma_f32 v164, 0xbf59a7d5, v176, -v179
	v_fma_f32 v180, 0xbf59a7d5, v175, -v158
	s_delay_alu instid0(VALU_DEP_3) | instskip(NEXT) | instid1(VALU_DEP_3)
	v_dual_fmac_f32 v158, 0xbf59a7d5, v175 :: v_dual_add_f32 v141, v102, v141
	v_dual_mul_f32 v102, 0x3f4c4adb, v161 :: v_dual_add_f32 v143, v164, v143
	s_delay_alu instid0(VALU_DEP_3) | instskip(NEXT) | instid1(VALU_DEP_3)
	v_dual_mul_f32 v161, 0x3f2c7751, v161 :: v_dual_add_f32 v178, v180, v103
	v_add_f32_e32 v142, v158, v142
	s_delay_alu instid0(VALU_DEP_3) | instskip(SKIP_1) | instid1(VALU_DEP_2)
	v_fmamk_f32 v164, v176, 0xbf1a4643, v102
	v_fma_f32 v102, 0xbf1a4643, v176, -v102
	v_add_f32_e32 v145, v164, v145
	s_delay_alu instid0(VALU_DEP_2) | instskip(SKIP_1) | instid1(VALU_DEP_2)
	v_dual_add_f32 v147, v102, v147 :: v_dual_fmamk_f32 v164, v176, 0x3f3d2fb0, v161
	v_mul_f32_e32 v103, 0x3f4c4adb, v151
	v_dual_mul_f32 v151, 0x3f2c7751, v151 :: v_dual_add_f32 v150, v164, v150
	s_delay_alu instid0(VALU_DEP_2) | instskip(NEXT) | instid1(VALU_DEP_1)
	v_fma_f32 v158, 0xbf1a4643, v175, -v103
	v_add_f32_e32 v144, v158, v144
	s_delay_alu instid0(VALU_DEP_3) | instskip(NEXT) | instid1(VALU_DEP_1)
	v_fma_f32 v158, 0x3f3d2fb0, v175, -v151
	v_add_f32_e32 v148, v158, v148
	v_sub_f32_e32 v158, v31, v5
	s_delay_alu instid0(VALU_DEP_1) | instskip(SKIP_1) | instid1(VALU_DEP_2)
	v_mul_f32_e32 v102, 0xbf763a35, v158
	v_mul_f32_e32 v164, 0x3f06c442, v158
	v_fmamk_f32 v179, v184, 0xbe8c1d8e, v102
	s_delay_alu instid0(VALU_DEP_1) | instskip(NEXT) | instid1(VALU_DEP_1)
	v_dual_add_f32 v60, v179, v60 :: v_dual_fmac_f32 v151, 0x3f3d2fb0, v175
	v_dual_fmac_f32 v103, 0xbf1a4643, v175 :: v_dual_add_f32 v62, v151, v62
	s_delay_alu instid0(VALU_DEP_1) | instskip(SKIP_1) | instid1(VALU_DEP_2)
	v_dual_add_f32 v146, v103, v146 :: v_dual_mul_f32 v103, 0xbf763a35, v181
	v_fmamk_f32 v151, v184, 0xbf59a7d5, v164
	v_fma_f32 v180, 0xbe8c1d8e, v185, -v103
	s_delay_alu instid0(VALU_DEP_2) | instskip(NEXT) | instid1(VALU_DEP_2)
	v_add_f32_e32 v149, v151, v149
	v_dual_add_f32 v61, v180, v61 :: v_dual_mul_f32 v180, 0x3f2c7751, v158
	v_fma_f32 v161, 0x3f3d2fb0, v176, -v161
	s_delay_alu instid0(VALU_DEP_1) | instskip(SKIP_3) | instid1(VALU_DEP_3)
	v_dual_fmamk_f32 v182, v184, 0x3f3d2fb0, v180 :: v_dual_add_f32 v63, v161, v63
	v_mul_f32_e32 v179, 0x3f06c442, v181
	v_mul_f32_e32 v183, 0x3f2c7751, v181
	v_dual_mul_f32 v161, 0xbf65296c, v158 :: v_dual_mul_f32 v188, 0xbf65296c, v181
	v_fma_f32 v151, 0xbf59a7d5, v185, -v179
	s_delay_alu instid0(VALU_DEP_3) | instskip(NEXT) | instid1(VALU_DEP_3)
	v_fma_f32 v186, 0x3f3d2fb0, v185, -v183
	v_fma_f32 v187, 0x3ee437d1, v184, -v161
	s_delay_alu instid0(VALU_DEP_3) | instskip(SKIP_1) | instid1(VALU_DEP_4)
	v_add_f32_e32 v151, v151, v153
	v_add_f32_e32 v153, v182, v160
	;; [unrolled: 1-line block ×3, first 2 shown]
	s_delay_alu instid0(VALU_DEP_4)
	v_add_f32_e32 v160, v187, v162
	v_fmamk_f32 v162, v185, 0x3ee437d1, v188
	v_mul_f32_e32 v182, 0xbe3c28d5, v158
	v_fma_f32 v186, 0x3ee437d1, v185, -v188
	v_mul_f32_e32 v187, 0xbe3c28d5, v181
	v_mul_f32_e32 v188, 0xbeb8f4ab, v181
	s_delay_alu instid0(VALU_DEP_3) | instskip(SKIP_3) | instid1(VALU_DEP_2)
	v_dual_add_f32 v157, v186, v157 :: v_dual_mul_f32 v186, 0x3f7ee86f, v158
	v_add_f32_e32 v155, v162, v155
	v_fma_f32 v162, 0xbf7ba420, v184, -v182
	v_fmac_f32_e32 v182, 0xbf7ba420, v184
	v_add_f32_e32 v156, v162, v156
	v_fma_f32 v162, 0xbf7ba420, v185, -v187
	s_delay_alu instid0(VALU_DEP_3) | instskip(NEXT) | instid1(VALU_DEP_2)
	v_add_f32_e32 v174, v182, v174
	v_dual_add_f32 v162, v162, v177 :: v_dual_fmac_f32 v161, 0x3ee437d1, v184
	v_mul_f32_e32 v177, 0xbeb8f4ab, v158
	v_mul_f32_e32 v158, 0xbf4c4adb, v158
	s_delay_alu instid0(VALU_DEP_3) | instskip(SKIP_3) | instid1(VALU_DEP_3)
	v_add_f32_e32 v152, v161, v152
	v_fmamk_f32 v161, v185, 0xbf7ba420, v187
	v_mul_f32_e32 v187, 0x3f7ee86f, v181
	v_mul_f32_e32 v181, 0xbf4c4adb, v181
	v_add_f32_e32 v159, v161, v159
	v_fma_f32 v161, 0x3dbcf732, v184, -v186
	s_delay_alu instid0(VALU_DEP_1) | instskip(NEXT) | instid1(VALU_DEP_1)
	v_dual_fmac_f32 v186, 0x3dbcf732, v184 :: v_dual_add_f32 v161, v161, v178
	v_add_f32_e32 v142, v186, v142
	v_fmamk_f32 v186, v185, 0xbf1a4643, v181
	s_delay_alu instid0(VALU_DEP_1)
	v_add_f32_e32 v150, v186, v150
	v_fma_f32 v182, 0x3dbcf732, v185, -v187
	v_fmamk_f32 v178, v185, 0x3dbcf732, v187
	v_sub_f32_e32 v186, v24, v14
	v_fma_f32 v187, 0x3f6eb680, v184, -v177
	v_add_f32_e32 v193, v14, v24
	v_add_f32_e32 v143, v182, v143
	v_dual_add_f32 v141, v178, v141 :: v_dual_fmamk_f32 v178, v185, 0x3f6eb680, v188
	v_fma_f32 v182, 0x3f6eb680, v185, -v188
	v_add_f32_e32 v144, v187, v144
	v_fma_f32 v187, 0xbf1a4643, v185, -v181
	s_delay_alu instid0(VALU_DEP_4)
	v_dual_mul_f32 v192, 0xbeb8f4ab, v186 :: v_dual_add_f32 v145, v178, v145
	v_fma_f32 v178, 0xbf1a4643, v184, -v158
	v_add_f32_e32 v147, v182, v147
	v_sub_f32_e32 v182, v25, v15
	v_fmac_f32_e32 v158, 0xbf1a4643, v184
	v_fmac_f32_e32 v177, 0x3f6eb680, v184
	v_add_f32_e32 v148, v178, v148
	v_mul_f32_e32 v178, 0xbf4c4adb, v186
	v_mul_f32_e32 v181, 0x3f763a35, v182
	v_add_f32_e32 v62, v158, v62
	v_add_f32_e32 v146, v177, v146
	v_mul_f32_e32 v177, 0xbf4c4adb, v182
	v_fma_f32 v158, 0xbf1a4643, v194, -v178
	v_add_f32_e32 v63, v187, v63
	v_fma_f32 v191, 0x3f6eb680, v194, -v192
	s_delay_alu instid0(VALU_DEP_3) | instskip(NEXT) | instid1(VALU_DEP_2)
	v_dual_fmamk_f32 v188, v193, 0xbf1a4643, v177 :: v_dual_add_f32 v61, v158, v61
	v_add_f32_e32 v154, v191, v154
	s_delay_alu instid0(VALU_DEP_2) | instskip(SKIP_2) | instid1(VALU_DEP_2)
	v_add_f32_e32 v60, v188, v60
	v_mul_f32_e32 v188, 0x3f763a35, v186
	v_fmamk_f32 v187, v193, 0xbe8c1d8e, v181
	v_fma_f32 v158, 0xbe8c1d8e, v194, -v188
	s_delay_alu instid0(VALU_DEP_2) | instskip(SKIP_1) | instid1(VALU_DEP_3)
	v_add_f32_e32 v149, v187, v149
	v_mul_f32_e32 v187, 0xbf06c442, v182
	v_dual_add_f32 v151, v158, v151 :: v_dual_mul_f32 v158, 0xbf06c442, v186
	s_delay_alu instid0(VALU_DEP_2) | instskip(SKIP_2) | instid1(VALU_DEP_4)
	v_fma_f32 v195, 0xbf59a7d5, v193, -v187
	v_fmac_f32_e32 v187, 0xbf59a7d5, v193
	v_mul_f32_e32 v189, 0xbeb8f4ab, v182
	v_fmamk_f32 v191, v194, 0xbf59a7d5, v158
	v_fma_f32 v158, 0xbf59a7d5, v194, -v158
	s_delay_alu instid0(VALU_DEP_4) | instskip(NEXT) | instid1(VALU_DEP_4)
	v_add_f32_e32 v152, v187, v152
	v_fmamk_f32 v190, v193, 0x3f6eb680, v189
	v_add_f32_e32 v160, v195, v160
	v_add_f32_e32 v155, v191, v155
	v_dual_add_f32 v157, v158, v157 :: v_dual_mul_f32 v158, 0xbf2c7751, v182
	s_delay_alu instid0(VALU_DEP_4) | instskip(NEXT) | instid1(VALU_DEP_2)
	v_dual_add_f32 v153, v190, v153 :: v_dual_mul_f32 v190, 0x3f7ee86f, v182
	v_fma_f32 v196, 0x3f3d2fb0, v193, -v158
	v_fmac_f32_e32 v158, 0x3f3d2fb0, v193
	s_delay_alu instid0(VALU_DEP_3) | instskip(SKIP_1) | instid1(VALU_DEP_3)
	v_fma_f32 v195, 0x3dbcf732, v193, -v190
	v_fmac_f32_e32 v190, 0x3dbcf732, v193
	v_dual_add_f32 v161, v196, v161 :: v_dual_add_f32 v142, v158, v142
	s_delay_alu instid0(VALU_DEP_3) | instskip(NEXT) | instid1(VALU_DEP_3)
	v_add_f32_e32 v156, v195, v156
	v_add_f32_e32 v174, v190, v174
	v_mul_f32_e32 v190, 0xbe3c28d5, v182
	v_mul_f32_e32 v195, 0xbf2c7751, v186
	;; [unrolled: 1-line block ×3, first 2 shown]
	v_add_f32_e32 v201, v12, v26
	s_delay_alu instid0(VALU_DEP_4) | instskip(NEXT) | instid1(VALU_DEP_1)
	v_fma_f32 v158, 0xbf7ba420, v193, -v190
	v_dual_mul_f32 v191, 0x3f7ee86f, v186 :: v_dual_add_f32 v144, v158, v144
	s_delay_alu instid0(VALU_DEP_1) | instskip(SKIP_1) | instid1(VALU_DEP_2)
	v_fmamk_f32 v187, v194, 0x3dbcf732, v191
	v_fma_f32 v191, 0x3dbcf732, v194, -v191
	v_add_f32_e32 v159, v187, v159
	s_delay_alu instid0(VALU_DEP_2) | instskip(NEXT) | instid1(VALU_DEP_1)
	v_dual_fmamk_f32 v187, v194, 0x3f3d2fb0, v195 :: v_dual_add_f32 v162, v191, v162
	v_add_f32_e32 v141, v187, v141
	v_mul_f32_e32 v187, 0xbe3c28d5, v186
	s_delay_alu instid0(VALU_DEP_1) | instskip(NEXT) | instid1(VALU_DEP_1)
	v_fma_f32 v158, 0xbf7ba420, v194, -v187
	v_dual_fmac_f32 v190, 0xbf7ba420, v193 :: v_dual_add_f32 v147, v158, v147
	v_sub_f32_e32 v158, v27, v13
	s_delay_alu instid0(VALU_DEP_2) | instskip(SKIP_1) | instid1(VALU_DEP_3)
	v_add_f32_e32 v146, v190, v146
	v_mul_f32_e32 v190, 0x3f65296c, v186
	v_mul_f32_e32 v186, 0xbf06c442, v158
	s_delay_alu instid0(VALU_DEP_1) | instskip(NEXT) | instid1(VALU_DEP_1)
	v_fmamk_f32 v196, v201, 0xbf59a7d5, v186
	v_add_f32_e32 v60, v196, v60
	v_fma_f32 v191, 0x3f3d2fb0, v194, -v195
	v_dual_sub_f32 v195, v26, v12 :: v_dual_mul_f32 v196, 0x3f4c4adb, v158
	s_delay_alu instid0(VALU_DEP_2) | instskip(NEXT) | instid1(VALU_DEP_2)
	v_add_f32_e32 v143, v191, v143
	v_mul_f32_e32 v202, 0xbf7ee86f, v195
	s_delay_alu instid0(VALU_DEP_3) | instskip(SKIP_1) | instid1(VALU_DEP_3)
	v_fma_f32 v203, 0xbf1a4643, v201, -v196
	v_mul_f32_e32 v204, 0x3f4c4adb, v195
	v_fma_f32 v200, 0x3dbcf732, v199, -v202
	s_delay_alu instid0(VALU_DEP_3) | instskip(SKIP_2) | instid1(VALU_DEP_4)
	v_dual_add_f32 v160, v203, v160 :: v_dual_fmamk_f32 v191, v194, 0xbf7ba420, v187
	v_fma_f32 v187, 0x3ee437d1, v193, -v182
	v_fmac_f32_e32 v182, 0x3ee437d1, v193
	v_add_f32_e32 v154, v200, v154
	v_fmac_f32_e32 v196, 0xbf1a4643, v201
	v_add_f32_e32 v145, v191, v145
	v_dual_add_f32 v148, v187, v148 :: v_dual_fmamk_f32 v191, v194, 0x3ee437d1, v190
	s_delay_alu instid0(VALU_DEP_3) | instskip(SKIP_1) | instid1(VALU_DEP_3)
	v_dual_mul_f32 v187, 0xbf06c442, v195 :: v_dual_add_f32 v152, v196, v152
	v_fma_f32 v200, 0xbf1a4643, v199, -v204
	v_dual_mul_f32 v203, 0xbeb8f4ab, v195 :: v_dual_add_f32 v150, v191, v150
	v_fma_f32 v191, 0x3ee437d1, v194, -v190
	s_delay_alu instid0(VALU_DEP_4) | instskip(SKIP_2) | instid1(VALU_DEP_4)
	v_fma_f32 v197, 0xbf59a7d5, v199, -v187
	v_mul_f32_e32 v190, 0x3f65296c, v158
	v_dual_add_f32 v62, v182, v62 :: v_dual_add_f32 v157, v200, v157
	v_add_f32_e32 v63, v191, v63
	v_mul_f32_e32 v191, 0x3f65296c, v195
	v_add_f32_e32 v61, v197, v61
	v_fmamk_f32 v182, v201, 0x3ee437d1, v190
	v_mul_f32_e32 v198, 0xbf7ee86f, v158
	v_fmamk_f32 v196, v199, 0x3f6eb680, v203
	s_delay_alu instid0(VALU_DEP_3) | instskip(SKIP_1) | instid1(VALU_DEP_3)
	v_dual_mul_f32 v200, 0xbe3c28d5, v158 :: v_dual_add_f32 v149, v182, v149
	v_fma_f32 v182, 0x3ee437d1, v199, -v191
	v_add_f32_e32 v159, v196, v159
	v_fmamk_f32 v197, v201, 0x3dbcf732, v198
	s_delay_alu instid0(VALU_DEP_4) | instskip(NEXT) | instid1(VALU_DEP_4)
	v_fma_f32 v196, 0xbf7ba420, v201, -v200
	v_dual_fmac_f32 v200, 0xbf7ba420, v201 :: v_dual_add_f32 v151, v182, v151
	s_delay_alu instid0(VALU_DEP_3) | instskip(SKIP_1) | instid1(VALU_DEP_4)
	v_add_f32_e32 v153, v197, v153
	v_mul_f32_e32 v197, 0xbeb8f4ab, v158
	v_dual_add_f32 v161, v196, v161 :: v_dual_fmamk_f32 v182, v199, 0xbf1a4643, v204
	v_mul_f32_e32 v204, 0x3f2c7751, v195
	v_add_f32_e32 v208, v200, v142
	s_delay_alu instid0(VALU_DEP_3) | instskip(SKIP_1) | instid1(VALU_DEP_1)
	v_dual_mul_f32 v142, 0xbf763a35, v158 :: v_dual_add_f32 v155, v182, v155
	v_fma_f32 v182, 0x3f6eb680, v201, -v197
	v_dual_fmac_f32 v197, 0x3f6eb680, v201 :: v_dual_add_f32 v156, v182, v156
	s_delay_alu instid0(VALU_DEP_1) | instskip(SKIP_1) | instid1(VALU_DEP_1)
	v_add_f32_e32 v174, v197, v174
	v_fma_f32 v182, 0x3f6eb680, v199, -v203
	v_dual_mul_f32 v203, 0xbe3c28d5, v195 :: v_dual_add_f32 v162, v182, v162
	s_delay_alu instid0(VALU_DEP_1) | instskip(SKIP_1) | instid1(VALU_DEP_2)
	v_fmamk_f32 v196, v199, 0xbf7ba420, v203
	v_fma_f32 v197, 0xbf7ba420, v199, -v203
	v_add_f32_e32 v207, v196, v141
	v_fmamk_f32 v141, v199, 0x3f3d2fb0, v204
	s_delay_alu instid0(VALU_DEP_3) | instskip(SKIP_2) | instid1(VALU_DEP_4)
	v_dual_mul_f32 v182, 0x3f2c7751, v158 :: v_dual_add_f32 v209, v197, v143
	v_mul_f32_e32 v143, 0xbf763a35, v195
	v_mul_f32_e32 v195, 0xbe3c28d5, v213
	v_add_f32_e32 v211, v141, v145
	v_fma_f32 v141, 0xbe8c1d8e, v201, -v142
	v_fma_f32 v203, 0x3f3d2fb0, v201, -v182
	v_mul_f32_e32 v196, 0xbe3c28d5, v215
	s_delay_alu instid0(VALU_DEP_3) | instskip(SKIP_1) | instid1(VALU_DEP_4)
	v_dual_mul_f32 v197, 0x3eb8f4ab, v213 :: v_dual_add_f32 v214, v141, v148
	v_fma_f32 v141, 0xbe8c1d8e, v199, -v143
	v_add_f32_e32 v210, v203, v144
	v_fma_f32 v144, 0x3f3d2fb0, v199, -v204
	v_add_f32_e32 v204, v19, v17
	s_delay_alu instid0(VALU_DEP_4) | instskip(NEXT) | instid1(VALU_DEP_3)
	v_dual_mul_f32 v203, 0xbf06c442, v213 :: v_dual_add_f32 v218, v141, v63
	v_dual_fmamk_f32 v145, v199, 0xbe8c1d8e, v143 :: v_dual_add_f32 v212, v144, v147
	v_fmamk_f32 v143, v205, 0xbf7ba420, v195
	s_delay_alu instid0(VALU_DEP_4) | instskip(NEXT) | instid1(VALU_DEP_4)
	v_fma_f32 v144, 0xbf7ba420, v204, -v196
	v_fmamk_f32 v141, v205, 0xbf59a7d5, v203
	v_mul_f32_e32 v200, 0x3eb8f4ab, v215
	v_dual_add_f32 v216, v145, v150 :: v_dual_mul_f32 v145, 0x3f2c7751, v213
	s_delay_alu instid0(VALU_DEP_4) | instskip(NEXT) | instid1(VALU_DEP_4)
	v_add_f32_e32 v63, v144, v61
	v_add_f32_e32 v141, v141, v153
	s_delay_alu instid0(VALU_DEP_4) | instskip(SKIP_3) | instid1(VALU_DEP_4)
	v_fma_f32 v61, 0x3f6eb680, v204, -v200
	v_fmac_f32_e32 v142, 0xbe8c1d8e, v201
	v_mul_f32_e32 v147, 0xbf4c4adb, v213
	v_mul_f32_e32 v153, 0x3f65296c, v213
	v_dual_add_f32 v61, v61, v151 :: v_dual_fmac_f32 v182, 0x3f3d2fb0, v201
	s_delay_alu instid0(VALU_DEP_4) | instskip(SKIP_2) | instid1(VALU_DEP_4)
	v_dual_add_f32 v217, v142, v62 :: v_dual_add_f32 v62, v143, v60
	v_fma_f32 v143, 0x3f3d2fb0, v205, -v145
	v_fmamk_f32 v60, v205, 0x3f6eb680, v197
	v_dual_add_f32 v182, v182, v146 :: v_dual_fmac_f32 v145, 0x3f3d2fb0, v205
	s_delay_alu instid0(VALU_DEP_3) | instskip(NEXT) | instid1(VALU_DEP_3)
	v_dual_mul_f32 v206, 0xbf06c442, v215 :: v_dual_add_f32 v143, v143, v160
	v_add_f32_e32 v60, v60, v149
	v_fma_f32 v149, 0xbf1a4643, v205, -v147
	v_fmac_f32_e32 v147, 0xbf1a4643, v205
	v_dual_mul_f32 v144, 0x3f2c7751, v215 :: v_dual_add_f32 v145, v145, v152
	v_fma_f32 v152, 0x3ee437d1, v205, -v153
	s_delay_alu instid0(VALU_DEP_3) | instskip(NEXT) | instid1(VALU_DEP_3)
	v_dual_mul_f32 v150, 0xbf4c4adb, v215 :: v_dual_add_f32 v147, v147, v174
	v_fmamk_f32 v146, v204, 0x3f3d2fb0, v144
	v_fma_f32 v148, 0x3f3d2fb0, v204, -v144
	v_add_f32_e32 v149, v149, v156
	v_fmac_f32_e32 v153, 0x3ee437d1, v205
	v_mul_f32_e32 v156, 0xbf763a35, v215
	v_dual_add_f32 v144, v146, v155 :: v_dual_mul_f32 v155, 0xbf763a35, v213
	v_fma_f32 v142, 0xbf59a7d5, v204, -v206
	s_delay_alu instid0(VALU_DEP_4) | instskip(SKIP_2) | instid1(VALU_DEP_4)
	v_dual_add_f32 v146, v148, v157 :: v_dual_add_f32 v157, v153, v208
	v_fmamk_f32 v148, v204, 0xbf1a4643, v150
	v_fma_f32 v151, 0xbf1a4643, v204, -v150
	v_dual_fmamk_f32 v153, v204, 0xbe8c1d8e, v156 :: v_dual_add_f32 v142, v142, v154
	s_delay_alu instid0(VALU_DEP_3) | instskip(NEXT) | instid1(VALU_DEP_3)
	v_add_f32_e32 v150, v148, v159
	v_add_f32_e32 v148, v151, v162
	v_fma_f32 v159, 0xbe8c1d8e, v205, -v155
	s_delay_alu instid0(VALU_DEP_4)
	v_dual_fmac_f32 v155, 0xbe8c1d8e, v205 :: v_dual_add_f32 v162, v153, v211
	v_mul_f32_e32 v154, 0x3f65296c, v215
	v_mul_f32_e32 v153, 0x3f7ee86f, v213
	v_add_f32_e32 v151, v152, v161
	v_add_f32_e32 v161, v159, v210
	;; [unrolled: 1-line block ×3, first 2 shown]
	s_delay_alu instid0(VALU_DEP_4) | instskip(SKIP_2) | instid1(VALU_DEP_2)
	v_fma_f32 v155, 0x3dbcf732, v205, -v153
	v_fmamk_f32 v152, v204, 0x3ee437d1, v154
	v_fma_f32 v154, 0x3ee437d1, v204, -v154
	v_dual_add_f32 v155, v155, v214 :: v_dual_add_f32 v152, v152, v207
	s_delay_alu instid0(VALU_DEP_2) | instskip(SKIP_2) | instid1(VALU_DEP_2)
	v_add_f32_e32 v158, v154, v209
	v_fma_f32 v154, 0xbe8c1d8e, v204, -v156
	v_mul_f32_e32 v156, 0x3f7ee86f, v215
	v_dual_fmac_f32 v153, 0x3dbcf732, v205 :: v_dual_add_f32 v160, v154, v212
	v_mul_lo_u16 v154, v168, 17
	s_delay_alu instid0(VALU_DEP_2) | instskip(SKIP_1) | instid1(VALU_DEP_2)
	v_dual_fmamk_f32 v174, v204, 0x3dbcf732, v156 :: v_dual_add_f32 v153, v153, v217
	v_fma_f32 v182, 0x3dbcf732, v204, -v156
	v_dual_add_f32 v156, v174, v216 :: v_dual_and_b32 v207, 0xffff, v154
	s_delay_alu instid0(VALU_DEP_2) | instskip(NEXT) | instid1(VALU_DEP_2)
	v_add_f32_e32 v154, v182, v218
	v_lshl_add_u32 v182, v207, 3, v106
	ds_store_2addr_b64 v182, v[66:67], v[36:37] offset1:1
	ds_store_2addr_b64 v182, v[40:41], v[44:45] offset0:2 offset1:3
	ds_store_2addr_b64 v182, v[48:49], v[50:51] offset0:4 offset1:5
	;; [unrolled: 1-line block ×7, first 2 shown]
	ds_store_b64 v182, v[32:33] offset:128
	s_and_saveexec_b32 s2, vcc_lo
	s_cbranch_execz .LBB0_7
; %bb.6:
	v_dual_mul_f32 v36, 0x3ee437d1, v83 :: v_dual_mul_f32 v37, 0x3ee437d1, v84
	v_dual_mul_f32 v42, 0xbf1a4643, v91 :: v_dual_mul_f32 v43, 0xbf1a4643, v92
	;; [unrolled: 1-line block ×3, first 2 shown]
	s_delay_alu instid0(VALU_DEP_3) | instskip(NEXT) | instid1(VALU_DEP_3)
	v_dual_add_f32 v37, v82, v37 :: v_dual_mul_f32 v82, 0x3f6eb680, v194
	v_dual_add_f32 v43, v90, v43 :: v_dual_mul_f32 v74, 0x3f6eb680, v193
	v_dual_mul_f32 v34, 0x3f6eb680, v83 :: v_dual_mul_f32 v35, 0x3f6eb680, v84
	s_delay_alu instid0(VALU_DEP_3) | instskip(SKIP_2) | instid1(VALU_DEP_3)
	v_dual_add_f32 v37, v37, v1 :: v_dual_mul_f32 v32, 0x3f3d2fb0, v83
	v_mul_f32_e32 v33, 0x3f3d2fb0, v84
	v_dual_mul_f32 v54, 0xbe8c1d8e, v175 :: v_dual_mul_f32 v55, 0xbe8c1d8e, v176
	v_dual_mul_f32 v84, 0xbf59a7d5, v199 :: v_dual_add_f32 v37, v43, v37
	v_dual_mul_f32 v90, 0x3ee437d1, v199 :: v_dual_add_f32 v43, v98, v49
	v_sub_f32_e32 v36, v36, v81
	v_sub_f32_e32 v42, v42, v89
	v_dual_mul_f32 v66, 0x3f3d2fb0, v184 :: v_dual_mul_f32 v67, 0x3f3d2fb0, v185
	s_delay_alu instid0(VALU_DEP_4)
	v_add_f32_e32 v37, v43, v37
	v_add_f32_e32 v43, v166, v55
	v_dual_mul_f32 v83, 0xbf59a7d5, v201 :: v_dual_add_f32 v36, v36, v0
	v_mul_f32_e32 v55, 0x3dbcf732, v199
	v_mul_f32_e32 v49, 0x3ee437d1, v201
	;; [unrolled: 1-line block ×3, first 2 shown]
	v_dual_mul_f32 v40, 0x3dbcf732, v91 :: v_dual_mul_f32 v41, 0x3dbcf732, v92
	v_add_f32_e32 v36, v42, v36
	v_sub_f32_e32 v42, v48, v97
	v_mul_f32_e32 v81, 0x3dbcf732, v201
	v_mul_f32_e32 v48, 0x3f6eb680, v205
	v_dual_mul_f32 v58, 0xbf59a7d5, v184 :: v_dual_mul_f32 v59, 0xbf59a7d5, v185
	s_delay_alu instid0(VALU_DEP_4) | instskip(SKIP_4) | instid1(VALU_DEP_4)
	v_add_f32_e32 v36, v42, v36
	v_sub_f32_e32 v42, v54, v165
	v_mul_f32_e32 v54, 0xbf59a7d5, v205
	v_sub_f32_e32 v32, v32, v77
	v_dual_mul_f32 v46, 0xbf1a4643, v99 :: v_dual_mul_f32 v47, 0xbf1a4643, v100
	v_add_f32_e32 v36, v42, v36
	v_dual_sub_f32 v42, v66, v180 :: v_dual_add_f32 v37, v43, v37
	v_add_f32_e32 v43, v183, v67
	v_mul_f32_e32 v67, 0xbf7ba420, v204
	v_add_f32_e32 v32, v32, v0
	s_delay_alu instid0(VALU_DEP_4)
	v_add_f32_e32 v36, v42, v36
	v_sub_f32_e32 v42, v74, v189
	v_add_f32_e32 v37, v43, v37
	v_add_f32_e32 v43, v192, v82
	v_sub_f32_e32 v40, v40, v85
	v_dual_mul_f32 v52, 0xbf7ba420, v175 :: v_dual_mul_f32 v53, 0xbf7ba420, v176
	s_delay_alu instid0(VALU_DEP_3) | instskip(SKIP_4) | instid1(VALU_DEP_4)
	v_dual_add_f32 v36, v42, v36 :: v_dual_add_f32 v37, v43, v37
	v_dual_sub_f32 v42, v81, v198 :: v_dual_add_f32 v43, v202, v55
	v_add_f32_e32 v33, v80, v33
	v_mul_f32_e32 v55, 0xbf59a7d5, v204
	v_dual_mul_f32 v70, 0xbe8c1d8e, v193 :: v_dual_mul_f32 v71, 0xbe8c1d8e, v194
	v_dual_add_f32 v37, v43, v37 :: v_dual_add_f32 v36, v42, v36
	s_delay_alu instid0(VALU_DEP_4) | instskip(SKIP_3) | instid1(VALU_DEP_3)
	v_dual_add_f32 v33, v33, v1 :: v_dual_sub_f32 v42, v54, v203
	v_add_f32_e32 v41, v88, v41
	v_dual_add_f32 v43, v206, v55 :: v_dual_add_f32 v40, v40, v32
	v_sub_f32_e32 v46, v46, v93
	v_dual_add_f32 v32, v42, v36 :: v_dual_add_f32 v33, v41, v33
	v_dual_add_f32 v41, v96, v47 :: v_dual_add_f32 v2, v2, v0
	s_delay_alu instid0(VALU_DEP_3) | instskip(NEXT) | instid1(VALU_DEP_2)
	v_dual_add_f32 v36, v46, v40 :: v_dual_add_f32 v47, v179, v59
	v_dual_mul_f32 v82, 0x3f6eb680, v204 :: v_dual_add_f32 v33, v41, v33
	s_delay_alu instid0(VALU_DEP_3) | instskip(SKIP_3) | instid1(VALU_DEP_4)
	v_dual_add_f32 v2, v20, v2 :: v_dual_add_f32 v41, v163, v53
	v_add_f32_e32 v3, v3, v1
	v_add_f32_e32 v20, v191, v90
	v_dual_mul_f32 v38, 0x3f3d2fb0, v91 :: v_dual_mul_f32 v39, 0x3f3d2fb0, v92
	v_dual_add_f32 v41, v41, v33 :: v_dual_add_f32 v2, v22, v2
	s_delay_alu instid0(VALU_DEP_4) | instskip(SKIP_1) | instid1(VALU_DEP_3)
	v_dual_add_f32 v3, v21, v3 :: v_dual_add_f32 v22, v200, v82
	v_dual_mul_f32 v44, 0x3ee437d1, v99 :: v_dual_mul_f32 v45, 0x3ee437d1, v100
	v_dual_add_f32 v40, v47, v41 :: v_dual_add_f32 v41, v188, v71
	v_add_f32_e32 v33, v43, v37
	v_dual_sub_f32 v37, v52, v101 :: v_dual_mul_f32 v56, 0xbe8c1d8e, v184
	v_mul_f32_e32 v57, 0xbe8c1d8e, v185
	v_dual_mul_f32 v50, 0x3dbcf732, v175 :: v_dual_mul_f32 v51, 0x3dbcf732, v176
	s_delay_alu instid0(VALU_DEP_3) | instskip(SKIP_3) | instid1(VALU_DEP_3)
	v_add_f32_e32 v36, v37, v36
	v_sub_f32_e32 v37, v58, v164
	v_add_f32_e32 v40, v41, v40
	v_dual_mul_f32 v68, 0xbf1a4643, v193 :: v_dual_mul_f32 v69, 0xbf1a4643, v194
	v_dual_add_f32 v21, v37, v36 :: v_dual_sub_f32 v36, v70, v181
	s_delay_alu instid0(VALU_DEP_3) | instskip(SKIP_1) | instid1(VALU_DEP_3)
	v_dual_add_f32 v3, v23, v3 :: v_dual_add_f32 v20, v20, v40
	v_add_f32_e32 v23, v28, v2
	v_dual_sub_f32 v28, v49, v190 :: v_dual_add_f32 v21, v36, v21
	s_delay_alu instid0(VALU_DEP_3) | instskip(SKIP_1) | instid1(VALU_DEP_3)
	v_dual_add_f32 v3, v29, v3 :: v_dual_add_f32 v2, v22, v20
	v_add_f32_e32 v20, v76, v35
	v_dual_add_f32 v22, v30, v23 :: v_dual_add_f32 v21, v28, v21
	v_sub_f32_e32 v23, v34, v75
	s_delay_alu instid0(VALU_DEP_4) | instskip(NEXT) | instid1(VALU_DEP_2)
	v_add_f32_e32 v3, v31, v3
	v_dual_add_f32 v0, v23, v0 :: v_dual_sub_f32 v23, v38, v78
	v_add_f32_e32 v1, v20, v1
	v_add_f32_e32 v20, v24, v22
	;; [unrolled: 1-line block ×3, first 2 shown]
	s_delay_alu instid0(VALU_DEP_2) | instskip(NEXT) | instid1(VALU_DEP_2)
	v_add_f32_e32 v20, v26, v20
	v_add_f32_e32 v1, v22, v1
	v_dual_add_f32 v3, v25, v3 :: v_dual_add_f32 v0, v23, v0
	v_add_f32_e32 v22, v87, v45
	s_delay_alu instid0(VALU_DEP_4) | instskip(SKIP_1) | instid1(VALU_DEP_2)
	v_add_f32_e32 v16, v16, v20
	v_add_f32_e32 v20, v95, v51
	v_dual_add_f32 v3, v27, v3 :: v_dual_add_f32 v16, v18, v16
	s_delay_alu instid0(VALU_DEP_1) | instskip(SKIP_1) | instid1(VALU_DEP_3)
	v_add_f32_e32 v3, v17, v3
	v_sub_f32_e32 v17, v44, v86
	v_dual_add_f32 v1, v22, v1 :: v_dual_add_f32 v12, v12, v16
	s_delay_alu instid0(VALU_DEP_3) | instskip(NEXT) | instid1(VALU_DEP_3)
	v_dual_sub_f32 v16, v56, v102 :: v_dual_add_f32 v3, v19, v3
	v_dual_add_f32 v0, v17, v0 :: v_dual_sub_f32 v17, v50, v94
	s_delay_alu instid0(VALU_DEP_3) | instskip(NEXT) | instid1(VALU_DEP_3)
	v_dual_add_f32 v12, v14, v12 :: v_dual_add_f32 v1, v20, v1
	v_add_f32_e32 v3, v13, v3
	s_delay_alu instid0(VALU_DEP_3) | instskip(NEXT) | instid1(VALU_DEP_3)
	v_dual_add_f32 v13, v103, v57 :: v_dual_add_f32 v0, v17, v0
	v_add_f32_e32 v4, v4, v12
	v_add_f32_e32 v12, v187, v84
	s_delay_alu instid0(VALU_DEP_4) | instskip(NEXT) | instid1(VALU_DEP_4)
	v_add_f32_e32 v3, v15, v3
	v_dual_add_f32 v1, v13, v1 :: v_dual_add_f32 v0, v16, v0
	s_delay_alu instid0(VALU_DEP_4) | instskip(SKIP_1) | instid1(VALU_DEP_2)
	v_add_f32_e32 v4, v6, v4
	v_add_f32_e32 v6, v196, v67
	v_dual_add_f32 v3, v5, v3 :: v_dual_add_f32 v4, v8, v4
	v_sub_f32_e32 v5, v68, v177
	s_delay_alu instid0(VALU_DEP_2) | instskip(NEXT) | instid1(VALU_DEP_2)
	v_dual_add_f32 v3, v7, v3 :: v_dual_add_f32 v8, v10, v4
	v_dual_add_f32 v13, v178, v69 :: v_dual_add_f32 v0, v5, v0
	s_delay_alu instid0(VALU_DEP_2) | instskip(NEXT) | instid1(VALU_DEP_2)
	v_add_f32_e32 v3, v9, v3
	v_add_f32_e32 v1, v13, v1
	s_delay_alu instid0(VALU_DEP_2) | instskip(SKIP_1) | instid1(VALU_DEP_3)
	v_add_f32_e32 v7, v11, v3
	v_sub_f32_e32 v9, v48, v197
	v_add_f32_e32 v1, v12, v1
	s_delay_alu instid0(VALU_DEP_1) | instskip(NEXT) | instid1(VALU_DEP_1)
	v_dual_sub_f32 v5, v83, v186 :: v_dual_add_f32 v4, v6, v1
	v_add_f32_e32 v0, v5, v0
	v_sub_f32_e32 v5, v89, v195
	v_add_f32_e32 v6, v65, v7
	v_add_f32_e32 v1, v9, v21
	s_delay_alu instid0(VALU_DEP_3)
	v_add_f32_e32 v3, v5, v0
	v_add_f32_e32 v5, v64, v8
	v_lshl_add_u32 v0, v107, 3, v106
	ds_store_2addr_b64 v0, v[5:6], v[3:4] offset1:1
	ds_store_2addr_b64 v0, v[1:2], v[32:33] offset0:2 offset1:3
	ds_store_2addr_b64 v0, v[143:144], v[149:150] offset0:4 offset1:5
	;; [unrolled: 1-line block ×7, first 2 shown]
	ds_store_b64 v0, v[62:63] offset:128
.LBB0_7:
	s_wait_alu 0xfffe
	s_or_b32 exec_lo, exec_lo, s2
	v_lshlrev_b32_e32 v0, 4, v168
	v_add_nc_u16 v4, v168, 34
	global_wb scope:SCOPE_SE
	s_wait_dscnt 0x0
	s_barrier_signal -1
	s_barrier_wait -1
	global_inv scope:SCOPE_SE
	global_load_b128 v[0:3], v0, s[0:1]
	v_add_nc_u16 v5, v168, 51
	v_and_b32_e32 v6, 0xff, v4
	v_add_nc_u16 v7, v168, 0x44
	v_add_nc_u16 v9, v168, 0x55
	;; [unrolled: 1-line block ×3, first 2 shown]
	v_and_b32_e32 v8, 0xff, v5
	v_mul_lo_u16 v6, 0xf1, v6
	v_mad_co_u64_u32 v[70:71], null, v168, 48, s[0:1]
	v_lshl_add_u32 v180, v73, 3, v72
	s_delay_alu instid0(VALU_DEP_4) | instskip(NEXT) | instid1(VALU_DEP_4)
	v_mul_lo_u16 v8, 0xf1, v8
	v_lshrrev_b16 v6, 12, v6
	s_delay_alu instid0(VALU_DEP_2) | instskip(NEXT) | instid1(VALU_DEP_2)
	v_lshrrev_b16 v8, 12, v8
	v_mul_lo_u16 v6, v6, 17
	s_delay_alu instid0(VALU_DEP_2) | instskip(NEXT) | instid1(VALU_DEP_2)
	v_mul_lo_u16 v8, v8, 17
	v_sub_nc_u16 v74, v4, v6
	s_delay_alu instid0(VALU_DEP_2) | instskip(NEXT) | instid1(VALU_DEP_2)
	v_sub_nc_u16 v75, v5, v8
	v_lshlrev_b16 v5, 1, v74
	s_delay_alu instid0(VALU_DEP_1) | instskip(NEXT) | instid1(VALU_DEP_1)
	v_and_b32_e32 v5, 0xfe, v5
	v_lshlrev_b32_e32 v5, 3, v5
	global_load_b128 v[20:23], v5, s[0:1]
	v_and_b32_e32 v10, 0xff, v7
	v_and_b32_e32 v12, 0xff, v9
	;; [unrolled: 1-line block ×3, first 2 shown]
	s_delay_alu instid0(VALU_DEP_3) | instskip(NEXT) | instid1(VALU_DEP_3)
	v_mul_lo_u16 v10, 0xf1, v10
	v_mul_lo_u16 v12, 0xf1, v12
	s_delay_alu instid0(VALU_DEP_3) | instskip(NEXT) | instid1(VALU_DEP_3)
	v_mul_lo_u16 v4, 0xf1, v13
	v_lshrrev_b16 v10, 12, v10
	s_delay_alu instid0(VALU_DEP_3) | instskip(NEXT) | instid1(VALU_DEP_3)
	v_lshrrev_b16 v6, 12, v12
	v_lshrrev_b16 v4, 12, v4
	s_delay_alu instid0(VALU_DEP_3) | instskip(NEXT) | instid1(VALU_DEP_3)
	v_mul_lo_u16 v10, v10, 17
	v_mul_lo_u16 v6, v6, 17
	s_delay_alu instid0(VALU_DEP_3) | instskip(NEXT) | instid1(VALU_DEP_3)
	v_mul_lo_u16 v4, v4, 17
	v_sub_nc_u16 v76, v7, v10
	v_lshlrev_b16 v7, 1, v75
	s_delay_alu instid0(VALU_DEP_4) | instskip(NEXT) | instid1(VALU_DEP_4)
	v_sub_nc_u16 v77, v9, v6
	v_sub_nc_u16 v78, v11, v4
	s_delay_alu instid0(VALU_DEP_4) | instskip(NEXT) | instid1(VALU_DEP_4)
	v_lshlrev_b16 v6, 1, v76
	v_and_b32_e32 v7, 0xfe, v7
	s_delay_alu instid0(VALU_DEP_4) | instskip(NEXT) | instid1(VALU_DEP_4)
	v_lshlrev_b16 v4, 1, v77
	v_lshlrev_b16 v5, 1, v78
	v_and_b32_e32 v76, 0xff, v76
	v_and_b32_e32 v6, 0xfe, v6
	v_lshlrev_b32_e32 v7, 3, v7
	v_and_b32_e32 v4, 0xfe, v4
	v_and_b32_e32 v5, 0xfe, v5
	v_lshl_add_u32 v172, v76, 3, v106
	v_lshlrev_b32_e32 v6, 3, v6
	global_load_b128 v[16:19], v7, s[0:1]
	v_lshlrev_b32_e32 v4, 3, v4
	v_lshlrev_b32_e32 v5, 3, v5
	s_clause 0x2
	global_load_b128 v[12:15], v6, s[0:1]
	global_load_b128 v[8:11], v4, s[0:1]
	;; [unrolled: 1-line block ×3, first 2 shown]
	ds_load_2addr_b64 v[24:27], v167 offset1:17
	ds_load_2addr_b64 v[28:31], v167 offset0:102 offset1:119
	ds_load_2addr_b64 v[32:35], v167 offset0:238 offset1:255
	ds_load_2addr_b64 v[36:39], v167 offset0:136 offset1:153
	ds_load_2addr_b64 v[40:43], v167 offset0:34 offset1:51
	v_and_b32_e32 v77, 0xff, v77
	ds_load_2addr_b64 v[44:47], v167 offset0:170 offset1:187
	ds_load_2addr_b64 v[48:51], v167 offset0:68 offset1:85
	;; [unrolled: 1-line block ×3, first 2 shown]
	ds_load_b64 v[68:69], v167 offset:2720
	s_add_nc_u64 s[0:1], s[12:13], 0xb28
	v_lshl_add_u32 v140, v77, 3, v106
	s_wait_loadcnt_dscnt 0x507
	v_mul_f32_e32 v76, v31, v1
	v_mul_f32_e32 v77, v30, v1
	s_wait_dscnt 0x5
	v_dual_mul_f32 v79, v32, v3 :: v_dual_mul_f32 v80, v37, v1
	v_mul_f32_e32 v81, v36, v1
	v_fma_f32 v30, v30, v0, -v76
	v_and_b32_e32 v78, 0xff, v78
	v_mul_f32_e32 v82, v35, v3
	v_mul_f32_e32 v83, v34, v3
	v_fmac_f32_e32 v77, v31, v0
	v_fmac_f32_e32 v79, v33, v2
	v_lshl_add_u32 v137, v78, 3, v106
	v_mul_f32_e32 v78, v33, v3
	v_dual_fmac_f32 v81, v37, v0 :: v_dual_add_nc_u32 v96, 0x800, v167
	v_add_f32_e32 v37, v25, v77
	v_fma_f32 v33, v34, v2, -v82
	s_delay_alu instid0(VALU_DEP_4)
	v_fma_f32 v31, v32, v2, -v78
	v_fma_f32 v32, v36, v0, -v80
	v_and_b32_e32 v75, 0xff, v75
	v_dual_fmac_f32 v83, v35, v2 :: v_dual_add_f32 v76, v77, v79
	ds_load_2addr_b64 v[56:59], v96 offset0:16 offset1:33
	ds_load_2addr_b64 v[64:67], v96 offset0:50 offset1:67
	v_dual_add_f32 v80, v32, v33 :: v_dual_add_f32 v35, v30, v31
	v_and_b32_e32 v74, 0xff, v74
	v_lshl_add_u32 v171, v75, 3, v106
	v_dual_sub_f32 v82, v81, v83 :: v_dual_add_nc_u32 v75, 0x800, v137
	v_add_f32_e32 v34, v24, v30
	v_sub_f32_e32 v36, v77, v79
	v_sub_f32_e32 v77, v30, v31
	v_fma_f32 v25, -0.5, v76, v25
	v_dual_add_f32 v84, v27, v81 :: v_dual_add_f32 v81, v81, v83
	v_fma_f32 v24, -0.5, v35, v24
	s_delay_alu instid0(VALU_DEP_3) | instskip(SKIP_1) | instid1(VALU_DEP_4)
	v_dual_add_f32 v78, v26, v32 :: v_dual_fmamk_f32 v35, v77, 0xbf5db3d7, v25
	v_dual_sub_f32 v85, v32, v33 :: v_dual_add_f32 v30, v34, v31
	v_fmac_f32_e32 v27, -0.5, v81
	v_fma_f32 v26, -0.5, v80, v26
	v_lshl_add_u32 v170, v74, 3, v106
	v_dual_add_f32 v31, v37, v79 :: v_dual_add_nc_u32 v74, 0x400, v140
	v_dual_fmamk_f32 v34, v36, 0x3f5db3d7, v24 :: v_dual_fmac_f32 v25, 0x3f5db3d7, v77
	v_dual_add_f32 v32, v78, v33 :: v_dual_add_f32 v33, v84, v83
	v_dual_fmac_f32 v24, 0xbf5db3d7, v36 :: v_dual_fmamk_f32 v37, v85, 0xbf5db3d7, v27
	v_dual_fmamk_f32 v36, v82, 0x3f5db3d7, v26 :: v_dual_fmac_f32 v27, 0x3f5db3d7, v85
	v_fmac_f32_e32 v26, 0xbf5db3d7, v82
	global_wb scope:SCOPE_SE
	s_wait_loadcnt_dscnt 0x0
	s_barrier_signal -1
	s_barrier_wait -1
	global_inv scope:SCOPE_SE
	ds_store_2addr_b64 v167, v[30:31], v[34:35] offset1:17
	ds_store_2addr_b64 v167, v[24:25], v[32:33] offset0:34 offset1:51
	ds_store_2addr_b64 v167, v[36:37], v[26:27] offset0:68 offset1:85
	v_mul_f32_e32 v25, v38, v21
	v_dual_mul_f32 v24, v39, v21 :: v_dual_mul_f32 v27, v56, v23
	s_delay_alu instid0(VALU_DEP_2) | instskip(NEXT) | instid1(VALU_DEP_2)
	v_dual_mul_f32 v26, v57, v23 :: v_dual_fmac_f32 v25, v39, v20
	v_fma_f32 v24, v38, v20, -v24
	s_delay_alu instid0(VALU_DEP_3)
	v_fmac_f32_e32 v27, v57, v22
	v_dual_mul_f32 v30, v45, v17 :: v_dual_mul_f32 v33, v58, v19
	v_dual_mul_f32 v31, v44, v17 :: v_dual_mul_f32 v32, v59, v19
	v_mul_f32_e32 v35, v46, v13
	v_dual_mul_f32 v34, v47, v13 :: v_dual_mul_f32 v37, v64, v15
	v_dual_mul_f32 v36, v65, v15 :: v_dual_mul_f32 v77, v52, v9
	;; [unrolled: 1-line block ×3, first 2 shown]
	v_mul_f32_e32 v82, v69, v7
	v_fma_f32 v30, v44, v16, -v30
	v_dual_mul_f32 v78, v67, v11 :: v_dual_mul_f32 v81, v54, v5
	v_dual_mul_f32 v80, v55, v5 :: v_dual_mul_f32 v83, v68, v7
	v_fma_f32 v26, v56, v22, -v26
	s_delay_alu instid0(VALU_DEP_4)
	v_dual_fmac_f32 v31, v45, v16 :: v_dual_add_f32 v56, v42, v30
	v_fma_f32 v34, v46, v12, -v34
	v_dual_add_f32 v46, v40, v24 :: v_dual_fmac_f32 v33, v59, v18
	v_fma_f32 v32, v58, v18, -v32
	v_fma_f32 v36, v64, v14, -v36
	v_fmac_f32_e32 v35, v47, v12
	v_fma_f32 v38, v52, v8, -v76
	v_sub_f32_e32 v52, v25, v27
	v_dual_fmac_f32 v37, v65, v14 :: v_dual_sub_f32 v58, v31, v33
	v_dual_fmac_f32 v77, v53, v8 :: v_dual_add_f32 v64, v31, v33
	v_fma_f32 v39, v66, v10, -v78
	v_dual_fmac_f32 v79, v67, v10 :: v_dual_sub_f32 v76, v34, v36
	v_fma_f32 v44, v54, v4, -v80
	v_dual_fmac_f32 v81, v55, v4 :: v_dual_add_f32 v66, v48, v34
	v_fma_f32 v45, v68, v6, -v82
	v_dual_add_f32 v47, v24, v26 :: v_dual_add_f32 v80, v38, v39
	v_add_f32_e32 v54, v25, v27
	v_dual_fmac_f32 v83, v69, v6 :: v_dual_sub_f32 v68, v35, v37
	v_dual_add_f32 v53, v41, v25 :: v_dual_add_f32 v78, v50, v38
	v_dual_add_f32 v57, v30, v32 :: v_dual_add_f32 v84, v51, v77
	;; [unrolled: 1-line block ×3, first 2 shown]
	v_add_f32_e32 v69, v49, v35
	v_add_f32_e32 v35, v35, v37
	v_dual_sub_f32 v55, v24, v26 :: v_dual_sub_f32 v82, v77, v79
	v_add_f32_e32 v77, v77, v79
	v_add_f32_e32 v59, v43, v31
	v_dual_sub_f32 v65, v30, v32 :: v_dual_add_f32 v86, v44, v45
	v_add_f32_e32 v24, v46, v26
	v_fma_f32 v26, -0.5, v47, v40
	v_dual_sub_f32 v85, v38, v39 :: v_dual_add_f32 v38, v28, v44
	v_sub_f32_e32 v87, v81, v83
	v_add_f32_e32 v81, v81, v83
	v_fma_f32 v42, -0.5, v57, v42
	v_add_f32_e32 v25, v53, v27
	v_fma_f32 v27, -0.5, v54, v41
	v_fma_f32 v34, -0.5, v67, v48
	v_fmac_f32_e32 v43, -0.5, v64
	v_add_f32_e32 v30, v56, v32
	v_fma_f32 v35, -0.5, v35, v49
	v_add_f32_e32 v32, v66, v36
	v_fmamk_f32 v46, v68, 0x3f5db3d7, v34
	v_fma_f32 v50, -0.5, v80, v50
	v_fmac_f32_e32 v51, -0.5, v77
	v_dual_sub_f32 v89, v44, v45 :: v_dual_add_f32 v36, v78, v39
	v_add_f32_e32 v38, v38, v45
	v_fma_f32 v28, -0.5, v86, v28
	v_fmamk_f32 v40, v52, 0x3f5db3d7, v26
	v_dual_fmac_f32 v26, 0xbf5db3d7, v52 :: v_dual_fmac_f32 v29, -0.5, v81
	v_fmamk_f32 v41, v55, 0xbf5db3d7, v27
	v_dual_add_f32 v31, v59, v33 :: v_dual_fmamk_f32 v44, v58, 0x3f5db3d7, v42
	v_dual_fmac_f32 v42, 0xbf5db3d7, v58 :: v_dual_fmamk_f32 v45, v65, 0xbf5db3d7, v43
	v_dual_add_f32 v33, v69, v37 :: v_dual_fmac_f32 v34, 0xbf5db3d7, v68
	v_fmamk_f32 v47, v76, 0xbf5db3d7, v35
	v_dual_add_f32 v37, v84, v79 :: v_dual_fmamk_f32 v48, v82, 0x3f5db3d7, v50
	v_dual_fmac_f32 v50, 0xbf5db3d7, v82 :: v_dual_fmamk_f32 v49, v85, 0xbf5db3d7, v51
	v_dual_add_f32 v39, v88, v83 :: v_dual_fmamk_f32 v52, v87, 0x3f5db3d7, v28
	v_fmac_f32_e32 v27, 0x3f5db3d7, v55
	v_fmac_f32_e32 v43, 0x3f5db3d7, v65
	;; [unrolled: 1-line block ×4, first 2 shown]
	v_dual_fmac_f32 v28, 0xbf5db3d7, v87 :: v_dual_fmamk_f32 v53, v89, 0xbf5db3d7, v29
	v_fmac_f32_e32 v29, 0x3f5db3d7, v89
	ds_store_2addr_b64 v170, v[24:25], v[40:41] offset0:102 offset1:119
	ds_store_2addr_b64 v171, v[30:31], v[44:45] offset0:153 offset1:170
	;; [unrolled: 1-line block ×4, first 2 shown]
	ds_store_b64 v170, v[26:27] offset:1088
	ds_store_b64 v171, v[42:43] offset:1496
	;; [unrolled: 1-line block ×4, first 2 shown]
	ds_store_2addr_b64 v75, v[38:39], v[52:53] offset0:50 offset1:67
	ds_store_b64 v137, v[28:29] offset:2720
	global_wb scope:SCOPE_SE
	s_wait_dscnt 0x0
	s_barrier_signal -1
	s_barrier_wait -1
	global_inv scope:SCOPE_SE
	s_clause 0x8
	global_load_b128 v[52:55], v[70:71], off offset:272
	global_load_b128 v[40:43], v[70:71], off offset:288
	;; [unrolled: 1-line block ×9, first 2 shown]
	ds_load_2addr_b64 v[64:67], v167 offset0:34 offset1:51
	ds_load_2addr_b64 v[68:71], v167 offset0:102 offset1:119
	;; [unrolled: 1-line block ×8, first 2 shown]
	ds_load_2addr_b64 v[183:186], v167 offset1:17
	ds_load_2addr_b64 v[187:190], v96 offset0:16 offset1:33
	ds_load_b64 v[86:87], v167 offset:2720
	v_add_nc_u32_e32 v88, 0x400, v167
	v_add_nc_u32_e32 v95, 0x800, v180
	s_wait_loadcnt_dscnt 0x80a
	v_mul_f32_e32 v73, v67, v53
	s_wait_dscnt 0x9
	v_dual_mul_f32 v93, v66, v53 :: v_dual_mul_f32 v94, v69, v55
	s_wait_loadcnt_dscnt 0x708
	v_dual_mul_f32 v101, v68, v55 :: v_dual_mul_f32 v102, v77, v41
	s_wait_dscnt 0x7
	v_mul_f32_e32 v181, v79, v43
	s_wait_loadcnt_dscnt 0x605
	v_dual_mul_f32 v194, v90, v27 :: v_dual_mul_f32 v103, v76, v41
	s_wait_loadcnt 0x1
	v_dual_mul_f32 v214, v83, v39 :: v_dual_mul_f32 v193, v84, v25
	s_wait_loadcnt_dscnt 0x0
	v_mul_f32_e32 v218, v87, v35
	v_mul_f32_e32 v198, v71, v59
	;; [unrolled: 1-line block ×6, first 2 shown]
	v_fma_f32 v66, v66, v52, -v73
	v_fmac_f32_e32 v93, v67, v52
	v_fma_f32 v67, v68, v54, -v94
	v_fmac_f32_e32 v101, v69, v54
	v_fma_f32 v68, v76, v40, -v102
	v_fma_f32 v69, v78, v42, -v181
	v_mul_f32_e32 v191, v78, v43
	v_fma_f32 v76, v89, v26, -v194
	v_mul_f32_e32 v195, v89, v27
	v_mul_f32_e32 v192, v85, v25
	;; [unrolled: 1-line block ×5, first 2 shown]
	v_dual_mul_f32 v206, v92, v31 :: v_dual_fmac_f32 v193, v85, v24
	v_fma_f32 v70, v70, v58, -v198
	v_add_f32_e32 v85, v66, v76
	v_sub_f32_e32 v66, v66, v76
	v_dual_fmac_f32 v195, v90, v26 :: v_dual_add_f32 v90, v68, v69
	v_fmac_f32_e32 v191, v79, v42
	v_fma_f32 v79, v187, v28, -v204
	v_mul_f32_e32 v213, v165, v37
	v_mul_f32_e32 v197, v97, v57
	v_mul_f32_e32 v201, v163, v45
	v_fma_f32 v73, v84, v24, -v192
	v_fma_f32 v78, v80, v46, -v202
	;; [unrolled: 1-line block ×3, first 2 shown]
	v_mul_f32_e32 v207, v91, v31
	v_add_f32_e32 v94, v70, v79
	v_sub_f32_e32 v70, v70, v79
	v_fmac_f32_e32 v213, v166, v36
	v_mul_f32_e32 v219, v86, v35
	v_add_f32_e32 v86, v93, v195
	v_fmac_f32_e32 v103, v77, v40
	v_fma_f32 v77, v97, v56, -v196
	v_mul_f32_e32 v203, v80, v47
	v_fma_f32 v80, v91, v30, -v206
	v_mul_f32_e32 v200, v164, v45
	v_fmac_f32_e32 v207, v92, v30
	v_fmac_f32_e32 v201, v164, v44
	v_sub_f32_e32 v68, v69, v68
	v_dual_add_f32 v92, v77, v80 :: v_dual_fmac_f32 v199, v71, v58
	v_fma_f32 v71, v163, v44, -v200
	v_dual_fmac_f32 v203, v81, v46 :: v_dual_mul_f32 v208, v100, v49
	s_delay_alu instid0(VALU_DEP_3)
	v_sub_f32_e32 v194, v94, v92
	v_mul_f32_e32 v215, v82, v39
	v_mul_f32_e32 v211, v74, v51
	v_fmac_f32_e32 v197, v98, v56
	v_fma_f32 v74, v74, v50, -v210
	v_dual_sub_f32 v77, v77, v80 :: v_dual_add_f32 v98, v71, v78
	v_dual_sub_f32 v71, v78, v71 :: v_dual_sub_f32 v78, v203, v201
	v_fmac_f32_e32 v215, v83, v38
	v_fma_f32 v83, v189, v32, -v216
	v_mul_f32_e32 v217, v189, v33
	v_fma_f32 v81, v99, v48, -v208
	v_fma_f32 v82, v82, v38, -v214
	v_add_f32_e32 v196, v71, v70
	v_dual_add_f32 v102, v74, v83 :: v_dual_fmac_f32 v211, v75, v50
	v_fma_f32 v75, v165, v36, -v212
	v_dual_fmac_f32 v217, v190, v32 :: v_dual_sub_f32 v198, v71, v70
	v_sub_f32_e32 v70, v70, v77
	v_dual_mul_f32 v209, v99, v49 :: v_dual_sub_f32 v80, v197, v207
	s_delay_alu instid0(VALU_DEP_4) | instskip(SKIP_1) | instid1(VALU_DEP_3)
	v_add_f32_e32 v163, v75, v82
	v_sub_f32_e32 v75, v82, v75
	v_dual_sub_f32 v74, v74, v83 :: v_dual_fmac_f32 v209, v100, v48
	v_add_f32_e32 v100, v81, v84
	s_delay_alu instid0(VALU_DEP_2) | instskip(SKIP_1) | instid1(VALU_DEP_3)
	v_dual_sub_f32 v81, v81, v84 :: v_dual_add_f32 v204, v75, v74
	v_sub_f32_e32 v206, v75, v74
	v_sub_f32_e32 v202, v102, v100
	;; [unrolled: 1-line block ×3, first 2 shown]
	v_fmac_f32_e32 v219, v87, v34
	v_add_f32_e32 v87, v67, v73
	v_dual_sub_f32 v67, v67, v73 :: v_dual_sub_f32 v208, v81, v75
	v_add_f32_e32 v200, v102, v100
	v_sub_f32_e32 v100, v100, v163
	v_sub_f32_e32 v102, v163, v102
	;; [unrolled: 1-line block ×3, first 2 shown]
	v_dual_sub_f32 v190, v68, v67 :: v_dual_mul_f32 v205, v187, v29
	v_dual_sub_f32 v76, v93, v195 :: v_dual_sub_f32 v83, v211, v217
	v_sub_f32_e32 v192, v67, v66
	v_mul_f32_e32 v100, 0x3f4a47b2, v100
	s_delay_alu instid0(VALU_DEP_4) | instskip(SKIP_3) | instid1(VALU_DEP_3)
	v_fmac_f32_e32 v205, v188, v28
	v_dual_add_f32 v188, v68, v67 :: v_dual_add_f32 v89, v101, v193
	v_dual_add_f32 v67, v94, v92 :: v_dual_sub_f32 v92, v92, v98
	v_add_f32_e32 v164, v213, v215
	v_dual_add_f32 v91, v103, v191 :: v_dual_add_f32 v166, v89, v86
	v_add_f32_e32 v93, v197, v207
	v_dual_sub_f32 v187, v89, v86 :: v_dual_sub_f32 v68, v66, v68
	v_dual_sub_f32 v94, v98, v94 :: v_dual_add_f32 v97, v199, v205
	v_sub_f32_e32 v79, v199, v205
	v_add_f32_e32 v205, v82, v83
	v_dual_sub_f32 v207, v82, v83 :: v_dual_sub_f32 v82, v84, v82
	v_dual_sub_f32 v86, v86, v91 :: v_dual_sub_f32 v73, v101, v193
	v_dual_add_f32 v101, v209, v219 :: v_dual_mul_f32 v92, 0x3f4a47b2, v92
	v_sub_f32_e32 v89, v91, v89
	s_delay_alu instid0(VALU_DEP_3)
	v_mul_f32_e32 v75, 0x3f4a47b2, v86
	v_dual_mul_f32 v86, 0xbf08b237, v190 :: v_dual_add_f32 v197, v78, v79
	v_dual_sub_f32 v199, v78, v79 :: v_dual_sub_f32 v78, v80, v78
	v_add_f32_e32 v165, v87, v85
	v_sub_f32_e32 v69, v191, v103
	v_sub_f32_e32 v181, v87, v85
	;; [unrolled: 1-line block ×4, first 2 shown]
	v_add_f32_e32 v90, v90, v165
	v_sub_f32_e32 v191, v69, v73
	v_add_f32_e32 v189, v69, v73
	v_sub_f32_e32 v79, v79, v80
	v_dual_add_f32 v165, v188, v66 :: v_dual_add_f32 v80, v197, v80
	s_delay_alu instid0(VALU_DEP_4)
	v_mul_f32_e32 v188, 0xbf08b237, v191
	v_mul_f32_e32 v197, 0xbf08b237, v199
	v_sub_f32_e32 v69, v76, v69
	v_sub_f32_e32 v73, v73, v76
	v_add_f32_e32 v99, v201, v203
	v_sub_f32_e32 v209, v74, v81
	s_delay_alu instid0(VALU_DEP_4) | instskip(SKIP_3) | instid1(VALU_DEP_3)
	v_dual_add_f32 v91, v91, v166 :: v_dual_fmamk_f32 v210, v69, 0x3eae86e6, v188
	v_dual_add_f32 v103, v211, v217 :: v_dual_add_f32 v98, v98, v67
	v_mul_f32_e32 v74, 0x3f4a47b2, v85
	v_dual_add_f32 v81, v204, v81 :: v_dual_mul_f32 v204, 0xbf08b237, v206
	v_add_f32_e32 v201, v103, v101
	v_sub_f32_e32 v203, v103, v101
	v_sub_f32_e32 v101, v101, v164
	;; [unrolled: 1-line block ×3, first 2 shown]
	v_mul_f32_e32 v85, 0x3d64c772, v89
	v_dual_add_f32 v164, v164, v201 :: v_dual_add_f32 v163, v163, v200
	v_mul_f32_e32 v206, 0x3f5ff5aa, v209
	v_add_f32_e32 v66, v183, v90
	v_add_f32_e32 v166, v189, v76
	;; [unrolled: 1-line block ×3, first 2 shown]
	v_sub_f32_e32 v195, v97, v93
	v_add_f32_e32 v67, v184, v91
	v_fmamk_f32 v89, v89, 0x3d64c772, v75
	v_fma_f32 v85, 0x3f3bfb3b, v187, -v85
	v_fma_f32 v184, 0xbf3bfb3b, v187, -v75
	v_fmamk_f32 v187, v68, 0x3eae86e6, v86
	v_fma_f32 v86, 0x3f5ff5aa, v192, -v86
	v_dual_add_f32 v75, v64, v163 :: v_dual_fmamk_f32 v64, v102, 0x3d64c772, v100
	v_dual_mul_f32 v190, 0x3f5ff5aa, v73 :: v_dual_sub_f32 v93, v93, v99
	s_delay_alu instid0(VALU_DEP_3) | instskip(SKIP_2) | instid1(VALU_DEP_4)
	v_fmac_f32_e32 v86, 0x3ee1c552, v165
	v_dual_sub_f32 v97, v99, v97 :: v_dual_mul_f32 v200, 0x3d64c772, v102
	v_mul_f32_e32 v76, 0x3d64c772, v87
	v_mul_f32_e32 v93, 0x3f4a47b2, v93
	v_add_f32_e32 v99, v99, v193
	v_fma_f32 v188, 0x3f5ff5aa, v73, -v188
	v_add_f32_e32 v73, v185, v98
	v_sub_f32_e32 v71, v77, v71
	v_dual_add_f32 v77, v196, v77 :: v_dual_mul_f32 v196, 0xbf08b237, v198
	v_fma_f32 v183, 0x3f3bfb3b, v181, -v76
	v_dual_add_f32 v76, v65, v164 :: v_dual_mul_f32 v193, 0x3d64c772, v97
	v_fmamk_f32 v97, v97, 0x3d64c772, v93
	v_sub_f32_e32 v83, v83, v84
	v_mul_f32_e32 v191, 0x3d64c772, v94
	v_mul_f32_e32 v198, 0x3f5ff5aa, v70
	v_dual_add_f32 v84, v205, v84 :: v_dual_mul_f32 v205, 0xbf08b237, v207
	s_delay_alu instid0(VALU_DEP_4)
	v_mul_f32_e32 v207, 0x3f5ff5aa, v83
	v_fma_f32 v70, 0x3f5ff5aa, v70, -v196
	v_fmamk_f32 v87, v87, 0x3d64c772, v74
	v_fma_f32 v181, 0xbf3bfb3b, v181, -v74
	v_fma_f32 v69, 0xbeae86e6, v69, -v190
	v_add_f32_e32 v74, v186, v99
	v_fmamk_f32 v94, v94, 0x3d64c772, v92
	v_fma_f32 v185, 0x3f3bfb3b, v194, -v191
	v_fma_f32 v92, 0xbf3bfb3b, v194, -v92
	v_fmamk_f32 v190, v78, 0x3eae86e6, v197
	v_fmac_f32_e32 v210, 0x3ee1c552, v166
	v_fma_f32 v186, 0x3f3bfb3b, v195, -v193
	v_fmamk_f32 v193, v82, 0x3eae86e6, v205
	v_fmac_f32_e32 v70, 0x3ee1c552, v77
	v_fma_f32 v191, 0x3f5ff5aa, v79, -v197
	v_fma_f32 v197, 0xbeae86e6, v82, -v207
	v_fmamk_f32 v82, v90, 0xbf955555, v66
	v_fmamk_f32 v90, v98, 0xbf955555, v73
	v_mul_f32_e32 v189, 0x3f5ff5aa, v192
	v_fmac_f32_e32 v188, 0x3ee1c552, v166
	v_fmac_f32_e32 v69, 0x3ee1c552, v166
	v_fma_f32 v93, 0xbf3bfb3b, v195, -v93
	v_add_f32_e32 v166, v92, v90
	v_fma_f32 v68, 0xbeae86e6, v68, -v189
	v_fmamk_f32 v189, v71, 0x3eae86e6, v196
	v_fma_f32 v71, 0xbeae86e6, v71, -v198
	v_fma_f32 v195, 0x3f5ff5aa, v83, -v205
	v_fmac_f32_e32 v193, 0x3ee1c552, v84
	v_fma_f32 v100, 0xbf3bfb3b, v202, -v100
	v_fmac_f32_e32 v189, 0x3ee1c552, v77
	v_mul_f32_e32 v199, 0x3f5ff5aa, v79
	v_fmac_f32_e32 v71, 0x3ee1c552, v77
	v_fmamk_f32 v77, v163, 0xbf955555, v75
	v_fmac_f32_e32 v190, 0x3ee1c552, v80
	v_fmac_f32_e32 v191, 0x3ee1c552, v80
	v_fma_f32 v192, 0xbeae86e6, v78, -v199
	v_fma_f32 v78, 0x3f3bfb3b, v202, -v200
	v_dual_add_f32 v64, v64, v77 :: v_dual_fmamk_f32 v83, v91, 0xbf955555, v67
	v_fmac_f32_e32 v195, 0x3ee1c552, v84
	s_delay_alu instid0(VALU_DEP_4) | instskip(NEXT) | instid1(VALU_DEP_4)
	v_fmac_f32_e32 v192, 0x3ee1c552, v80
	v_add_f32_e32 v198, v78, v77
	s_delay_alu instid0(VALU_DEP_4) | instskip(SKIP_3) | instid1(VALU_DEP_4)
	v_dual_fmac_f32 v187, 0x3ee1c552, v165 :: v_dual_add_f32 v98, v89, v83
	v_fma_f32 v194, 0x3f5ff5aa, v209, -v204
	v_fmac_f32_e32 v68, 0x3ee1c552, v165
	v_fmamk_f32 v80, v164, 0xbf955555, v76
	v_dual_fmac_f32 v197, 0x3ee1c552, v84 :: v_dual_sub_f32 v78, v98, v187
	v_fmamk_f32 v91, v99, 0xbf955555, v74
	v_dual_add_f32 v84, v183, v82 :: v_dual_add_f32 v183, v193, v64
	v_sub_f32_e32 v64, v64, v193
	v_add_f32_e32 v200, v100, v77
	s_delay_alu instid0(VALU_DEP_4)
	v_dual_add_f32 v164, v97, v91 :: v_dual_mul_f32 v101, 0x3f4a47b2, v101
	v_add_f32_e32 v165, v186, v91
	v_fma_f32 v196, 0xbeae86e6, v208, -v206
	v_add_f32_e32 v89, v181, v82
	v_add_f32_e32 v99, v184, v83
	v_add_f32_e32 v163, v94, v90
	v_sub_f32_e32 v100, v165, v70
	v_fmac_f32_e32 v194, 0x3ee1c552, v81
	v_mul_f32_e32 v201, 0x3d64c772, v103
	v_fmamk_f32 v65, v103, 0x3d64c772, v101
	v_fmamk_f32 v103, v208, 0x3eae86e6, v204
	v_fma_f32 v101, 0xbf3bfb3b, v203, -v101
	v_add_f32_e32 v102, v185, v90
	s_delay_alu instid0(VALU_DEP_4) | instskip(NEXT) | instid1(VALU_DEP_4)
	v_dual_add_f32 v90, v187, v98 :: v_dual_add_f32 v65, v65, v80
	v_fmac_f32_e32 v103, 0x3ee1c552, v81
	v_add_f32_e32 v98, v70, v165
	v_fma_f32 v79, 0x3f3bfb3b, v203, -v201
	v_add_f32_e32 v85, v85, v83
	v_add_f32_e32 v181, v93, v91
	v_dual_sub_f32 v184, v65, v103 :: v_dual_add_f32 v87, v87, v82
	s_delay_alu instid0(VALU_DEP_4) | instskip(SKIP_2) | instid1(VALU_DEP_4)
	v_dual_fmac_f32 v196, 0x3ee1c552, v81 :: v_dual_add_f32 v199, v79, v80
	v_add_f32_e32 v201, v101, v80
	v_add_f32_e32 v79, v69, v89
	v_dual_add_f32 v77, v210, v87 :: v_dual_sub_f32 v80, v99, v68
	v_dual_sub_f32 v81, v84, v188 :: v_dual_add_f32 v82, v86, v85
	v_dual_add_f32 v83, v188, v84 :: v_dual_sub_f32 v84, v85, v86
	v_dual_sub_f32 v85, v89, v69 :: v_dual_add_f32 v86, v68, v99
	v_sub_f32_e32 v89, v87, v210
	v_dual_add_f32 v93, v192, v166 :: v_dual_sub_f32 v94, v181, v71
	v_sub_f32_e32 v97, v102, v191
	v_add_f32_e32 v99, v191, v102
	v_dual_sub_f32 v101, v166, v192 :: v_dual_add_f32 v102, v71, v181
	v_dual_sub_f32 v165, v163, v190 :: v_dual_add_f32 v166, v189, v164
	v_dual_add_f32 v91, v190, v163 :: v_dual_sub_f32 v92, v164, v189
	v_add_f32_e32 v185, v197, v200
	v_dual_sub_f32 v186, v201, v196 :: v_dual_sub_f32 v163, v198, v195
	v_add_f32_e32 v164, v194, v199
	v_add_f32_e32 v68, v195, v198
	v_dual_sub_f32 v69, v199, v194 :: v_dual_sub_f32 v70, v200, v197
	v_add_f32_e32 v71, v196, v201
	v_add_f32_e32 v65, v103, v65
	ds_store_2addr_b64 v167, v[77:78], v[79:80] offset0:51 offset1:102
	ds_store_2addr_b64 v167, v[81:82], v[83:84] offset0:153 offset1:204
	;; [unrolled: 1-line block ×3, first 2 shown]
	ds_store_2addr_b64 v167, v[66:67], v[73:74] offset1:17
	ds_store_b64 v167, v[75:76] offset:272
	ds_store_2addr_b64 v180, v[91:92], v[183:184] offset0:68 offset1:85
	ds_store_2addr_b64 v180, v[93:94], v[185:186] offset0:119 offset1:136
	;; [unrolled: 1-line block ×6, first 2 shown]
	global_wb scope:SCOPE_SE
	s_wait_dscnt 0x0
	s_barrier_signal -1
	s_barrier_wait -1
	global_inv scope:SCOPE_SE
	s_clause 0x10
	global_load_b64 v[66:67], v[104:105], off offset:2856
	global_load_b64 v[85:86], v72, s[0:1] offset:168
	global_load_b64 v[93:94], v72, s[0:1] offset:336
	;; [unrolled: 1-line block ×16, first 2 shown]
	ds_load_2addr_b64 v[73:76], v167 offset1:21
	ds_load_2addr_b64 v[77:80], v167 offset0:42 offset1:63
	ds_load_2addr_b64 v[81:84], v167 offset0:84 offset1:105
	;; [unrolled: 1-line block ×7, first 2 shown]
	ds_load_b64 v[219:220], v167 offset:2688
	s_wait_loadcnt_dscnt 0x1008
	v_mul_f32_e32 v181, v74, v67
	v_mul_f32_e32 v87, v73, v67
	s_wait_loadcnt 0xf
	v_mul_f32_e32 v221, v76, v86
	v_mul_f32_e32 v67, v75, v86
	s_wait_loadcnt_dscnt 0xe07
	v_mul_f32_e32 v223, v78, v94
	v_mul_f32_e32 v95, v77, v94
	s_wait_loadcnt 0xd
	v_mul_f32_e32 v224, v80, v102
	v_mul_f32_e32 v103, v79, v102
	s_wait_loadcnt_dscnt 0xc06
	v_mul_f32_e32 v225, v82, v166
	v_mul_f32_e32 v222, v81, v166
	s_wait_loadcnt 0xb
	v_mul_f32_e32 v226, v84, v196
	s_wait_loadcnt_dscnt 0xa05
	v_dual_mul_f32 v166, v83, v196 :: v_dual_mul_f32 v227, v90, v198
	v_mul_f32_e32 v196, v89, v198
	s_wait_loadcnt 0x9
	v_mul_f32_e32 v228, v92, v200
	s_wait_loadcnt_dscnt 0x804
	v_dual_mul_f32 v198, v91, v200 :: v_dual_mul_f32 v229, v98, v202
	;; [unrolled: 5-line block ×6, first 2 shown]
	v_mul_f32_e32 v216, v219, v218
	v_fma_f32 v86, v73, v66, -v181
	v_fmac_f32_e32 v87, v74, v66
	v_fma_f32 v66, v75, v85, -v221
	v_fmac_f32_e32 v67, v76, v85
	v_fmac_f32_e32 v216, v220, v217
	v_fma_f32 v94, v77, v93, -v223
	v_fmac_f32_e32 v95, v78, v93
	v_fma_f32 v102, v79, v101, -v224
	;; [unrolled: 2-line block ×15, first 2 shown]
	ds_store_2addr_b64 v167, v[86:87], v[66:67] offset1:21
	ds_store_2addr_b64 v167, v[94:95], v[102:103] offset0:42 offset1:63
	ds_store_2addr_b64 v167, v[221:222], v[165:166] offset0:84 offset1:105
	;; [unrolled: 1-line block ×7, first 2 shown]
	ds_store_b64 v167, v[215:216] offset:2688
	s_and_saveexec_b32 s2, vcc_lo
	s_cbranch_execz .LBB0_9
; %bb.8:
	s_wait_alu 0xfffe
	v_add_co_u32 v66, s0, s0, v72
	s_wait_alu 0xf1ff
	v_add_co_ci_u32_e64 v67, null, s1, 0, s0
	s_clause 0x10
	global_load_b64 v[93:94], v[66:67], off offset:136
	global_load_b64 v[101:102], v[66:67], off offset:304
	;; [unrolled: 1-line block ×17, first 2 shown]
	ds_load_2addr_b64 v[72:75], v167 offset0:17 offset1:38
	ds_load_2addr_b64 v[76:79], v167 offset0:59 offset1:80
	;; [unrolled: 1-line block ×8, first 2 shown]
	ds_load_b64 v[217:218], v167 offset:2824
	s_wait_loadcnt_dscnt 0x1008
	v_mul_f32_e32 v181, v73, v94
	v_mul_f32_e32 v95, v72, v94
	s_wait_loadcnt 0xf
	v_mul_f32_e32 v219, v75, v102
	v_mul_f32_e32 v103, v74, v102
	s_wait_loadcnt_dscnt 0xe07
	v_mul_f32_e32 v221, v77, v166
	v_mul_f32_e32 v220, v76, v166
	s_wait_loadcnt 0xd
	v_mul_f32_e32 v222, v79, v192
	s_wait_loadcnt_dscnt 0xc06
	v_dual_mul_f32 v166, v78, v192 :: v_dual_mul_f32 v223, v81, v194
	v_dual_mul_f32 v192, v80, v194 :: v_dual_fmac_f32 v95, v73, v93
	s_wait_loadcnt 0xb
	v_mul_f32_e32 v224, v83, v196
	s_wait_loadcnt_dscnt 0xa05
	v_dual_mul_f32 v194, v82, v196 :: v_dual_mul_f32 v225, v85, v198
	s_wait_loadcnt_dscnt 0x704
	v_mul_f32_e32 v228, v92, v204
	v_dual_mul_f32 v196, v84, v198 :: v_dual_fmac_f32 v103, v75, v101
	v_mul_f32_e32 v226, v87, v200
	v_mul_f32_e32 v198, v86, v200
	;; [unrolled: 1-line block ×4, first 2 shown]
	s_wait_loadcnt_dscnt 0x603
	v_dual_mul_f32 v202, v91, v204 :: v_dual_mul_f32 v229, v98, v206
	s_wait_loadcnt 0x5
	v_mul_f32_e32 v230, v100, v208
	v_mul_f32_e32 v204, v97, v206
	s_wait_loadcnt_dscnt 0x402
	v_dual_mul_f32 v206, v99, v208 :: v_dual_mul_f32 v231, v184, v210
	v_mul_f32_e32 v208, v183, v210
	s_wait_loadcnt_dscnt 0x201
	v_dual_mul_f32 v232, v186, v212 :: v_dual_mul_f32 v233, v188, v214
	v_mul_f32_e32 v210, v185, v212
	v_mul_f32_e32 v212, v187, v214
	s_wait_loadcnt 0x1
	v_mul_f32_e32 v234, v190, v216
	s_wait_loadcnt_dscnt 0x0
	v_dual_mul_f32 v214, v189, v216 :: v_dual_mul_f32 v235, v218, v67
	v_mul_f32_e32 v216, v217, v67
	v_fma_f32 v94, v72, v93, -v181
	v_fma_f32 v102, v74, v101, -v219
	;; [unrolled: 1-line block ×3, first 2 shown]
	v_fmac_f32_e32 v220, v77, v165
	v_fma_f32 v165, v78, v191, -v222
	v_fmac_f32_e32 v166, v79, v191
	v_fma_f32 v191, v80, v193, -v223
	;; [unrolled: 2-line block ×14, first 2 shown]
	v_fmac_f32_e32 v216, v218, v66
	ds_store_2addr_b64 v167, v[94:95], v[102:103] offset0:17 offset1:38
	ds_store_2addr_b64 v167, v[219:220], v[165:166] offset0:59 offset1:80
	;; [unrolled: 1-line block ×8, first 2 shown]
	ds_store_b64 v167, v[215:216] offset:2824
.LBB0_9:
	s_wait_alu 0xfffe
	s_or_b32 exec_lo, exec_lo, s2
	global_wb scope:SCOPE_SE
	s_wait_dscnt 0x0
	s_barrier_signal -1
	s_barrier_wait -1
	global_inv scope:SCOPE_SE
	ds_load_2addr_b64 v[100:103], v167 offset1:21
	ds_load_2addr_b64 v[92:95], v167 offset0:42 offset1:63
	ds_load_2addr_b64 v[84:87], v167 offset0:84 offset1:105
	;; [unrolled: 1-line block ×7, first 2 shown]
	ds_load_b64 v[165:166], v167 offset:2688
	s_and_saveexec_b32 s0, vcc_lo
	s_cbranch_execz .LBB0_11
; %bb.10:
	v_lshl_add_u32 v64, v168, 3, v106
	ds_load_2addr_b64 v[141:144], v64 offset0:206 offset1:227
	ds_load_2addr_b64 v[145:148], v64 offset0:164 offset1:185
	v_add_nc_u32_e32 v60, 0x400, v64
	v_add_nc_u32_e32 v61, 0x800, v64
	ds_load_2addr_b64 v[149:152], v64 offset0:122 offset1:143
	s_wait_dscnt 0x2
	v_dual_mov_b32 v154, v142 :: v_dual_mov_b32 v153, v141
	ds_load_2addr_b64 v[183:186], v60 offset0:120 offset1:141
	ds_load_2addr_b64 v[187:190], v61 offset0:34 offset1:55
	ds_load_b64 v[163:164], v167 offset:136
	ds_load_2addr_b64 v[60:63], v61 offset0:76 offset1:97
	ds_load_2addr_b64 v[68:71], v64 offset0:38 offset1:59
	;; [unrolled: 1-line block ×3, first 2 shown]
	v_dual_mov_b32 v159, v143 :: v_dual_mov_b32 v160, v144
	s_wait_dscnt 0x7
	v_dual_mov_b32 v155, v147 :: v_dual_mov_b32 v156, v148
	v_dual_mov_b32 v161, v145 :: v_dual_mov_b32 v162, v146
	s_wait_dscnt 0x5
	v_dual_mov_b32 v157, v183 :: v_dual_mov_b32 v158, v184
	;; [unrolled: 3-line block ×4, first 2 shown]
.LBB0_11:
	s_wait_alu 0xfffe
	s_or_b32 exec_lo, exec_lo, s0
	s_wait_dscnt 0x8
	v_dual_add_f32 v66, v100, v102 :: v_dual_add_f32 v67, v101, v103
	v_add_nc_u32_e32 v174, 0x88, v180
	s_wait_dscnt 0x0
	v_dual_sub_f32 v184, v103, v166 :: v_dual_add_nc_u32 v173, 0x110, v180
	s_delay_alu instid0(VALU_DEP_3) | instskip(SKIP_1) | instid1(VALU_DEP_3)
	v_dual_add_f32 v66, v66, v92 :: v_dual_add_f32 v183, v165, v102
	v_add_f32_e32 v67, v67, v93
	v_dual_sub_f32 v102, v102, v165 :: v_dual_mul_f32 v185, 0xbeb8f4ab, v184
	v_add_f32_e32 v103, v166, v103
	s_delay_alu instid0(VALU_DEP_3) | instskip(SKIP_1) | instid1(VALU_DEP_4)
	v_dual_add_f32 v66, v66, v94 :: v_dual_add_f32 v67, v67, v95
	v_sub_f32_e32 v212, v93, v99
	v_fmamk_f32 v194, v183, 0x3f6eb680, v185
	s_delay_alu instid0(VALU_DEP_4) | instskip(SKIP_2) | instid1(VALU_DEP_3)
	v_mul_f32_e32 v186, 0x3f6eb680, v103
	v_fma_f32 v185, 0x3f6eb680, v183, -v185
	v_dual_add_f32 v67, v67, v85 :: v_dual_add_f32 v66, v66, v84
	v_dual_add_f32 v194, v100, v194 :: v_dual_fmamk_f32 v195, v102, 0x3eb8f4ab, v186
	global_wb scope:SCOPE_SE
	v_add_f32_e32 v67, v67, v87
	v_dual_mul_f32 v187, 0xbf2c7751, v184 :: v_dual_add_f32 v66, v66, v86
	v_mul_f32_e32 v188, 0x3f3d2fb0, v103
	v_add_f32_e32 v195, v101, v195
	s_delay_alu instid0(VALU_DEP_4) | instskip(NEXT) | instid1(VALU_DEP_4)
	v_add_f32_e32 v67, v67, v77
	v_fmamk_f32 v196, v183, 0x3f3d2fb0, v187
	v_add_f32_e32 v66, v66, v76
	v_fma_f32 v187, 0x3f3d2fb0, v183, -v187
	s_barrier_signal -1
	v_add_f32_e32 v67, v67, v79
	v_mul_f32_e32 v190, 0x3ee437d1, v103
	v_dual_mul_f32 v189, 0xbf65296c, v184 :: v_dual_add_f32 v66, v66, v78
	s_delay_alu instid0(VALU_DEP_3) | instskip(SKIP_1) | instid1(VALU_DEP_4)
	v_dual_add_f32 v196, v100, v196 :: v_dual_add_f32 v67, v67, v73
	v_fmac_f32_e32 v186, 0xbeb8f4ab, v102
	v_fmamk_f32 v199, v102, 0x3f65296c, v190
	s_delay_alu instid0(VALU_DEP_4) | instskip(NEXT) | instid1(VALU_DEP_4)
	v_dual_fmamk_f32 v198, v183, 0x3ee437d1, v189 :: v_dual_add_f32 v185, v100, v185
	v_add_f32_e32 v67, v67, v75
	v_mul_f32_e32 v192, 0x3dbcf732, v103
	v_dual_fmamk_f32 v197, v102, 0x3f2c7751, v188 :: v_dual_add_f32 v186, v101, v186
	v_fma_f32 v189, 0x3ee437d1, v183, -v189
	s_delay_alu instid0(VALU_DEP_4) | instskip(NEXT) | instid1(VALU_DEP_3)
	v_dual_add_f32 v67, v67, v81 :: v_dual_add_f32 v66, v66, v72
	v_dual_fmac_f32 v190, 0xbf65296c, v102 :: v_dual_add_f32 v197, v101, v197
	s_barrier_wait -1
	s_delay_alu instid0(VALU_DEP_2) | instskip(NEXT) | instid1(VALU_DEP_3)
	v_add_f32_e32 v67, v67, v83
	v_dual_mul_f32 v191, 0xbf7ee86f, v184 :: v_dual_add_f32 v66, v66, v74
	v_dual_fmac_f32 v188, 0xbf2c7751, v102 :: v_dual_add_f32 v187, v100, v187
	s_delay_alu instid0(VALU_DEP_3) | instskip(SKIP_1) | instid1(VALU_DEP_4)
	v_add_f32_e32 v67, v67, v89
	v_fmamk_f32 v201, v102, 0x3f7ee86f, v192
	v_add_f32_e32 v66, v66, v80
	v_fmamk_f32 v200, v183, 0x3dbcf732, v191
	s_delay_alu instid0(VALU_DEP_4) | instskip(NEXT) | instid1(VALU_DEP_3)
	v_dual_add_f32 v188, v101, v188 :: v_dual_add_f32 v67, v67, v91
	v_dual_mul_f32 v193, 0xbf763a35, v184 :: v_dual_add_f32 v66, v66, v82
	v_dual_fmac_f32 v192, 0xbf7ee86f, v102 :: v_dual_add_f32 v199, v101, v199
	s_delay_alu instid0(VALU_DEP_3) | instskip(NEXT) | instid1(VALU_DEP_3)
	v_dual_add_f32 v67, v67, v97 :: v_dual_add_f32 v198, v100, v198
	v_add_f32_e32 v66, v66, v88
	v_fma_f32 v191, 0x3dbcf732, v183, -v191
	s_delay_alu instid0(VALU_DEP_3) | instskip(SKIP_1) | instid1(VALU_DEP_4)
	v_dual_add_f32 v190, v101, v190 :: v_dual_add_f32 v67, v67, v99
	v_add_f32_e32 v200, v100, v200
	v_dual_add_f32 v66, v66, v90 :: v_dual_add_f32 v189, v100, v189
	s_delay_alu instid0(VALU_DEP_4) | instskip(NEXT) | instid1(VALU_DEP_4)
	v_add_f32_e32 v191, v100, v191
	v_dual_add_f32 v67, v67, v166 :: v_dual_add_f32 v166, v101, v201
	s_delay_alu instid0(VALU_DEP_3)
	v_dual_add_f32 v66, v66, v96 :: v_dual_mul_f32 v201, 0xbe8c1d8e, v103
	global_inv scope:SCOPE_SE
	v_add_f32_e32 v93, v99, v93
	v_dual_add_f32 v99, v98, v92 :: v_dual_sub_f32 v92, v92, v98
	v_add_f32_e32 v66, v66, v98
	v_fmamk_f32 v203, v102, 0x3f763a35, v201
	v_mul_f32_e32 v202, 0xbf4c4adb, v184
	s_delay_alu instid0(VALU_DEP_3) | instskip(NEXT) | instid1(VALU_DEP_3)
	v_dual_fmac_f32 v201, 0xbf763a35, v102 :: v_dual_add_f32 v66, v66, v165
	v_add_f32_e32 v203, v101, v203
	s_delay_alu instid0(VALU_DEP_3) | instskip(SKIP_4) | instid1(VALU_DEP_4)
	v_dual_mul_f32 v204, 0xbf1a4643, v103 :: v_dual_fmamk_f32 v205, v183, 0xbf1a4643, v202
	v_fma_f32 v202, 0xbf1a4643, v183, -v202
	v_mul_f32_e32 v207, 0xbf06c442, v184
	v_fmamk_f32 v165, v183, 0xbe8c1d8e, v193
	v_fma_f32 v193, 0xbe8c1d8e, v183, -v193
	v_dual_add_f32 v201, v101, v201 :: v_dual_add_f32 v202, v100, v202
	s_delay_alu instid0(VALU_DEP_4) | instskip(SKIP_1) | instid1(VALU_DEP_4)
	v_dual_mul_f32 v208, 0xbf59a7d5, v103 :: v_dual_fmamk_f32 v209, v183, 0xbf59a7d5, v207
	v_fma_f32 v207, 0xbf59a7d5, v183, -v207
	v_dual_mul_f32 v184, 0xbe3c28d5, v184 :: v_dual_add_f32 v193, v100, v193
	v_fmamk_f32 v206, v102, 0x3f4c4adb, v204
	s_delay_alu instid0(VALU_DEP_3) | instskip(NEXT) | instid1(VALU_DEP_3)
	v_dual_fmac_f32 v204, 0xbf4c4adb, v102 :: v_dual_add_f32 v207, v100, v207
	v_fmamk_f32 v211, v183, 0xbf7ba420, v184
	v_fmamk_f32 v210, v102, 0x3f06c442, v208
	v_fmac_f32_e32 v208, 0xbf06c442, v102
	v_dual_mul_f32 v103, 0xbf7ba420, v103 :: v_dual_add_f32 v192, v101, v192
	v_add_f32_e32 v165, v100, v165
	v_dual_add_f32 v205, v100, v205 :: v_dual_add_f32 v206, v101, v206
	s_delay_alu instid0(VALU_DEP_3)
	v_dual_add_f32 v208, v101, v208 :: v_dual_fmamk_f32 v213, v102, 0x3e3c28d5, v103
	v_dual_fmac_f32 v103, 0xbe3c28d5, v102 :: v_dual_add_f32 v204, v101, v204
	v_add_f32_e32 v209, v100, v209
	v_dual_add_f32 v211, v100, v211 :: v_dual_add_f32 v210, v101, v210
	v_fma_f32 v183, 0xbf7ba420, v183, -v184
	v_add_f32_e32 v102, v101, v213
	v_dual_mul_f32 v184, 0xbf2c7751, v212 :: v_dual_add_f32 v101, v101, v103
	v_mul_f32_e32 v98, 0x3f3d2fb0, v93
	s_delay_alu instid0(VALU_DEP_4) | instskip(NEXT) | instid1(VALU_DEP_3)
	v_dual_add_f32 v100, v100, v183 :: v_dual_mul_f32 v183, 0xbf7ee86f, v212
	v_fmamk_f32 v213, v99, 0x3f3d2fb0, v184
	v_fma_f32 v184, 0x3f3d2fb0, v99, -v184
	s_delay_alu instid0(VALU_DEP_2) | instskip(NEXT) | instid1(VALU_DEP_1)
	v_dual_fmamk_f32 v103, v92, 0x3f2c7751, v98 :: v_dual_add_f32 v194, v213, v194
	v_dual_fmac_f32 v98, 0xbf2c7751, v92 :: v_dual_add_f32 v103, v103, v195
	s_delay_alu instid0(VALU_DEP_3) | instskip(NEXT) | instid1(VALU_DEP_2)
	v_dual_fmamk_f32 v195, v99, 0x3dbcf732, v183 :: v_dual_add_f32 v184, v184, v185
	v_dual_mul_f32 v213, 0x3dbcf732, v93 :: v_dual_add_f32 v98, v98, v186
	v_mul_f32_e32 v185, 0xbf4c4adb, v212
	s_delay_alu instid0(VALU_DEP_3) | instskip(SKIP_1) | instid1(VALU_DEP_4)
	v_add_f32_e32 v186, v195, v196
	v_fma_f32 v183, 0x3dbcf732, v99, -v183
	v_fmamk_f32 v195, v92, 0x3f7ee86f, v213
	v_fmac_f32_e32 v213, 0xbf7ee86f, v92
	v_fmamk_f32 v196, v99, 0xbf1a4643, v185
	s_delay_alu instid0(VALU_DEP_4) | instskip(NEXT) | instid1(VALU_DEP_4)
	v_dual_mul_f32 v214, 0xbf1a4643, v93 :: v_dual_add_f32 v183, v183, v187
	v_add_f32_e32 v195, v195, v197
	s_delay_alu instid0(VALU_DEP_3) | instskip(NEXT) | instid1(VALU_DEP_3)
	v_dual_add_f32 v187, v213, v188 :: v_dual_add_f32 v188, v196, v198
	v_fmamk_f32 v196, v92, 0x3f4c4adb, v214
	v_fma_f32 v185, 0xbf1a4643, v99, -v185
	v_fmac_f32_e32 v214, 0xbf4c4adb, v92
	v_mul_f32_e32 v198, 0xbf7ba420, v93
	s_delay_alu instid0(VALU_DEP_4) | instskip(NEXT) | instid1(VALU_DEP_4)
	v_dual_mul_f32 v213, 0x3f06c442, v212 :: v_dual_add_f32 v196, v196, v199
	v_add_f32_e32 v185, v185, v189
	s_delay_alu instid0(VALU_DEP_3) | instskip(NEXT) | instid1(VALU_DEP_1)
	v_dual_add_f32 v189, v214, v190 :: v_dual_fmamk_f32 v190, v92, 0x3e3c28d5, v198
	v_dual_mul_f32 v197, 0xbe3c28d5, v212 :: v_dual_add_f32 v166, v190, v166
	s_delay_alu instid0(VALU_DEP_1) | instskip(SKIP_3) | instid1(VALU_DEP_4)
	v_fmamk_f32 v199, v99, 0xbf7ba420, v197
	v_fmamk_f32 v190, v99, 0xbf59a7d5, v213
	v_fma_f32 v197, 0xbf7ba420, v99, -v197
	v_fmac_f32_e32 v198, 0xbe3c28d5, v92
	v_dual_add_f32 v199, v199, v200 :: v_dual_mul_f32 v200, 0xbf59a7d5, v93
	s_delay_alu instid0(VALU_DEP_4) | instskip(NEXT) | instid1(VALU_DEP_2)
	v_add_f32_e32 v165, v190, v165
	v_dual_add_f32 v191, v197, v191 :: v_dual_fmamk_f32 v190, v92, 0xbf06c442, v200
	v_fmac_f32_e32 v200, 0x3f06c442, v92
	v_mul_f32_e32 v197, 0x3f763a35, v212
	v_add_f32_e32 v192, v198, v192
	s_delay_alu instid0(VALU_DEP_4) | instskip(SKIP_2) | instid1(VALU_DEP_2)
	v_add_f32_e32 v190, v190, v203
	v_fma_f32 v198, 0xbf59a7d5, v99, -v213
	v_mul_f32_e32 v203, 0x3f65296c, v212
	v_dual_mul_f32 v212, 0x3eb8f4ab, v212 :: v_dual_add_f32 v193, v198, v193
	v_dual_add_f32 v198, v200, v201 :: v_dual_fmamk_f32 v213, v99, 0xbe8c1d8e, v197
	v_fma_f32 v197, 0xbe8c1d8e, v99, -v197
	s_delay_alu instid0(VALU_DEP_1) | instskip(NEXT) | instid1(VALU_DEP_1)
	v_dual_mul_f32 v214, 0xbe8c1d8e, v93 :: v_dual_add_f32 v197, v197, v202
	v_dual_add_f32 v200, v213, v205 :: v_dual_fmamk_f32 v201, v92, 0xbf763a35, v214
	v_mul_f32_e32 v205, 0x3ee437d1, v93
	s_delay_alu instid0(VALU_DEP_2) | instskip(NEXT) | instid1(VALU_DEP_2)
	v_dual_add_f32 v201, v201, v206 :: v_dual_fmamk_f32 v206, v99, 0x3ee437d1, v203
	v_fmamk_f32 v202, v92, 0xbf65296c, v205
	s_delay_alu instid0(VALU_DEP_2) | instskip(SKIP_2) | instid1(VALU_DEP_3)
	v_dual_fmac_f32 v205, 0x3f65296c, v92 :: v_dual_add_f32 v206, v206, v209
	v_fma_f32 v203, 0x3ee437d1, v99, -v203
	v_fmac_f32_e32 v214, 0x3f763a35, v92
	v_add_f32_e32 v205, v205, v208
	s_delay_alu instid0(VALU_DEP_3) | instskip(SKIP_1) | instid1(VALU_DEP_4)
	v_add_f32_e32 v203, v203, v207
	v_dual_sub_f32 v207, v95, v97 :: v_dual_add_f32 v202, v202, v210
	v_dual_add_f32 v95, v97, v95 :: v_dual_add_f32 v204, v214, v204
	v_fmamk_f32 v209, v99, 0x3f6eb680, v212
	v_dual_mul_f32 v93, 0x3f6eb680, v93 :: v_dual_add_f32 v210, v96, v94
	v_fma_f32 v97, 0x3f6eb680, v99, -v212
	s_delay_alu instid0(VALU_DEP_3) | instskip(SKIP_1) | instid1(VALU_DEP_4)
	v_add_f32_e32 v208, v209, v211
	v_mul_f32_e32 v211, 0xbf65296c, v207
	v_fmamk_f32 v209, v92, 0xbeb8f4ab, v93
	v_fmac_f32_e32 v93, 0x3eb8f4ab, v92
	v_sub_f32_e32 v92, v94, v96
	v_dual_mul_f32 v96, 0x3ee437d1, v95 :: v_dual_add_f32 v97, v97, v100
	s_delay_alu instid0(VALU_DEP_4) | instskip(SKIP_1) | instid1(VALU_DEP_3)
	v_dual_fmamk_f32 v94, v210, 0x3ee437d1, v211 :: v_dual_add_f32 v99, v209, v102
	v_mul_f32_e32 v209, 0xbe8c1d8e, v95
	v_fmamk_f32 v100, v92, 0x3f65296c, v96
	v_fmac_f32_e32 v96, 0xbf65296c, v92
	s_delay_alu instid0(VALU_DEP_4) | instskip(SKIP_1) | instid1(VALU_DEP_4)
	v_add_f32_e32 v94, v94, v194
	v_fma_f32 v102, 0x3ee437d1, v210, -v211
	v_dual_add_f32 v100, v100, v103 :: v_dual_add_f32 v93, v93, v101
	s_delay_alu instid0(VALU_DEP_2) | instskip(SKIP_1) | instid1(VALU_DEP_2)
	v_dual_mul_f32 v101, 0xbf4c4adb, v207 :: v_dual_add_f32 v102, v102, v184
	v_mul_f32_e32 v194, 0xbf1a4643, v95
	v_dual_add_f32 v96, v96, v98 :: v_dual_fmamk_f32 v103, v210, 0xbf1a4643, v101
	v_fma_f32 v101, 0xbf1a4643, v210, -v101
	s_delay_alu instid0(VALU_DEP_2) | instskip(NEXT) | instid1(VALU_DEP_2)
	v_dual_fmamk_f32 v98, v92, 0x3f4c4adb, v194 :: v_dual_add_f32 v103, v103, v186
	v_add_f32_e32 v101, v101, v183
	s_delay_alu instid0(VALU_DEP_2) | instskip(SKIP_2) | instid1(VALU_DEP_1)
	v_add_f32_e32 v98, v98, v195
	v_mul_f32_e32 v195, 0xbf7ba420, v95
	v_mul_f32_e32 v184, 0x3e3c28d5, v207
	v_fmamk_f32 v186, v210, 0xbf7ba420, v184
	s_delay_alu instid0(VALU_DEP_1) | instskip(NEXT) | instid1(VALU_DEP_4)
	v_add_f32_e32 v186, v186, v188
	v_fmamk_f32 v188, v92, 0xbe3c28d5, v195
	v_fmac_f32_e32 v195, 0x3e3c28d5, v92
	v_fmac_f32_e32 v194, 0xbf4c4adb, v92
	v_fma_f32 v184, 0xbf7ba420, v210, -v184
	s_delay_alu instid0(VALU_DEP_1) | instskip(NEXT) | instid1(VALU_DEP_4)
	v_add_f32_e32 v184, v184, v185
	v_add_f32_e32 v185, v195, v189
	s_delay_alu instid0(VALU_DEP_4) | instskip(SKIP_2) | instid1(VALU_DEP_2)
	v_add_f32_e32 v183, v194, v187
	v_mul_f32_e32 v187, 0x3f763a35, v207
	v_mul_f32_e32 v195, 0x3f2c7751, v207
	v_fmamk_f32 v194, v210, 0xbe8c1d8e, v187
	s_delay_alu instid0(VALU_DEP_1) | instskip(SKIP_1) | instid1(VALU_DEP_2)
	v_dual_add_f32 v189, v194, v199 :: v_dual_fmamk_f32 v194, v92, 0xbf763a35, v209
	v_add_f32_e32 v188, v188, v196
	v_dual_fmac_f32 v209, 0x3f763a35, v92 :: v_dual_add_f32 v166, v194, v166
	v_fmamk_f32 v194, v210, 0x3f3d2fb0, v195
	v_fma_f32 v187, 0xbe8c1d8e, v210, -v187
	s_delay_alu instid0(VALU_DEP_2) | instskip(SKIP_1) | instid1(VALU_DEP_3)
	v_dual_mul_f32 v196, 0x3f3d2fb0, v95 :: v_dual_add_f32 v165, v194, v165
	v_fma_f32 v194, 0x3f3d2fb0, v210, -v195
	v_add_f32_e32 v187, v187, v191
	s_delay_alu instid0(VALU_DEP_3) | instskip(NEXT) | instid1(VALU_DEP_3)
	v_dual_add_f32 v191, v209, v192 :: v_dual_fmamk_f32 v192, v92, 0xbf2c7751, v196
	v_dual_fmac_f32 v196, 0x3f2c7751, v92 :: v_dual_add_f32 v193, v194, v193
	v_mul_f32_e32 v199, 0xbeb8f4ab, v207
	s_delay_alu instid0(VALU_DEP_3) | instskip(NEXT) | instid1(VALU_DEP_3)
	v_dual_mul_f32 v195, 0x3f6eb680, v95 :: v_dual_add_f32 v190, v192, v190
	v_dual_add_f32 v194, v196, v198 :: v_dual_mul_f32 v209, 0x3dbcf732, v95
	s_delay_alu instid0(VALU_DEP_3) | instskip(SKIP_2) | instid1(VALU_DEP_3)
	v_fmamk_f32 v192, v210, 0x3f6eb680, v199
	v_mul_f32_e32 v196, 0xbf7ee86f, v207
	v_fma_f32 v199, 0x3f6eb680, v210, -v199
	v_add_f32_e32 v192, v192, v200
	s_delay_alu instid0(VALU_DEP_2) | instskip(NEXT) | instid1(VALU_DEP_1)
	v_dual_fmamk_f32 v200, v210, 0x3dbcf732, v196 :: v_dual_add_f32 v197, v199, v197
	v_add_f32_e32 v199, v200, v206
	v_fmamk_f32 v200, v92, 0x3f7ee86f, v209
	v_fmac_f32_e32 v209, 0xbf7ee86f, v92
	v_fmamk_f32 v198, v92, 0x3eb8f4ab, v195
	v_fma_f32 v196, 0x3dbcf732, v210, -v196
	s_delay_alu instid0(VALU_DEP_1) | instskip(NEXT) | instid1(VALU_DEP_4)
	v_dual_fmac_f32 v195, 0xbeb8f4ab, v92 :: v_dual_add_f32 v196, v196, v203
	v_add_f32_e32 v203, v209, v205
	s_delay_alu instid0(VALU_DEP_4) | instskip(SKIP_4) | instid1(VALU_DEP_4)
	v_dual_add_f32 v198, v198, v201 :: v_dual_mul_f32 v201, 0xbf06c442, v207
	v_sub_f32_e32 v205, v85, v91
	v_add_f32_e32 v85, v91, v85
	v_dual_mul_f32 v95, 0xbf59a7d5, v95 :: v_dual_add_f32 v200, v200, v202
	v_add_f32_e32 v195, v195, v204
	v_mul_f32_e32 v91, 0xbf7ee86f, v205
	s_delay_alu instid0(VALU_DEP_3) | instskip(SKIP_3) | instid1(VALU_DEP_2)
	v_fmamk_f32 v204, v92, 0x3f06c442, v95
	v_fmamk_f32 v202, v210, 0xbf59a7d5, v201
	v_fma_f32 v201, 0xbf59a7d5, v210, -v201
	v_fmac_f32_e32 v95, 0xbf06c442, v92
	v_add_f32_e32 v97, v201, v97
	v_dual_add_f32 v99, v204, v99 :: v_dual_add_f32 v204, v90, v84
	v_sub_f32_e32 v84, v84, v90
	s_delay_alu instid0(VALU_DEP_4) | instskip(SKIP_1) | instid1(VALU_DEP_4)
	v_dual_add_f32 v202, v202, v208 :: v_dual_add_f32 v93, v95, v93
	v_mul_f32_e32 v95, 0xbe3c28d5, v205
	v_fmamk_f32 v92, v204, 0x3dbcf732, v91
	v_fma_f32 v91, 0x3dbcf732, v204, -v91
	v_mul_f32_e32 v90, 0x3dbcf732, v85
	s_delay_alu instid0(VALU_DEP_3) | instskip(NEXT) | instid1(VALU_DEP_3)
	v_add_f32_e32 v92, v92, v94
	v_add_f32_e32 v91, v91, v102
	s_delay_alu instid0(VALU_DEP_3) | instskip(SKIP_1) | instid1(VALU_DEP_1)
	v_fmamk_f32 v201, v84, 0x3f7ee86f, v90
	v_fmac_f32_e32 v90, 0xbf7ee86f, v84
	v_add_f32_e32 v90, v90, v96
	s_delay_alu instid0(VALU_DEP_3) | instskip(SKIP_1) | instid1(VALU_DEP_2)
	v_dual_add_f32 v100, v201, v100 :: v_dual_mul_f32 v201, 0xbf7ba420, v85
	v_mul_f32_e32 v96, 0x3f763a35, v205
	v_fmamk_f32 v102, v84, 0x3e3c28d5, v201
	v_fmac_f32_e32 v201, 0xbe3c28d5, v84
	s_delay_alu instid0(VALU_DEP_3) | instskip(SKIP_2) | instid1(VALU_DEP_1)
	v_fmamk_f32 v206, v204, 0xbe8c1d8e, v96
	v_fmamk_f32 v94, v204, 0xbf7ba420, v95
	v_fma_f32 v95, 0xbf7ba420, v204, -v95
	v_dual_add_f32 v98, v102, v98 :: v_dual_add_f32 v95, v95, v101
	v_add_f32_e32 v101, v201, v183
	v_add_f32_e32 v183, v206, v186
	v_dual_add_f32 v94, v94, v103 :: v_dual_mul_f32 v103, 0xbe8c1d8e, v85
	v_mul_f32_e32 v186, 0x3eb8f4ab, v205
	s_delay_alu instid0(VALU_DEP_2) | instskip(SKIP_1) | instid1(VALU_DEP_3)
	v_fmamk_f32 v102, v84, 0xbf763a35, v103
	v_fmac_f32_e32 v103, 0x3f763a35, v84
	v_fmamk_f32 v201, v204, 0x3f6eb680, v186
	v_fma_f32 v186, 0x3f6eb680, v204, -v186
	s_delay_alu instid0(VALU_DEP_4) | instskip(SKIP_1) | instid1(VALU_DEP_3)
	v_add_f32_e32 v102, v102, v188
	v_mul_f32_e32 v188, 0x3f6eb680, v85
	v_dual_add_f32 v103, v103, v185 :: v_dual_add_f32 v186, v186, v187
	v_add_f32_e32 v189, v201, v189
	s_delay_alu instid0(VALU_DEP_3) | instskip(SKIP_1) | instid1(VALU_DEP_1)
	v_fmamk_f32 v185, v84, 0xbeb8f4ab, v188
	v_fmac_f32_e32 v188, 0x3eb8f4ab, v84
	v_dual_add_f32 v166, v185, v166 :: v_dual_add_f32 v187, v188, v191
	v_fma_f32 v96, 0xbe8c1d8e, v204, -v96
	s_delay_alu instid0(VALU_DEP_1) | instskip(SKIP_1) | instid1(VALU_DEP_2)
	v_dual_mul_f32 v185, 0x3ee437d1, v85 :: v_dual_add_f32 v96, v96, v184
	v_mul_f32_e32 v184, 0xbf65296c, v205
	v_fmamk_f32 v191, v84, 0x3f65296c, v185
	v_fmac_f32_e32 v185, 0xbf65296c, v84
	s_delay_alu instid0(VALU_DEP_2) | instskip(SKIP_1) | instid1(VALU_DEP_3)
	v_dual_fmamk_f32 v201, v204, 0x3ee437d1, v184 :: v_dual_add_f32 v190, v191, v190
	v_fma_f32 v184, 0x3ee437d1, v204, -v184
	v_dual_add_f32 v185, v185, v194 :: v_dual_mul_f32 v194, 0xbf1a4643, v85
	s_delay_alu instid0(VALU_DEP_3)
	v_add_f32_e32 v165, v201, v165
	v_mul_f32_e32 v201, 0xbf59a7d5, v85
	v_mul_f32_e32 v188, 0xbf06c442, v205
	v_add_f32_e32 v184, v184, v193
	v_mul_f32_e32 v193, 0x3f4c4adb, v205
	v_mul_f32_e32 v85, 0x3f3d2fb0, v85
	v_fmamk_f32 v191, v84, 0x3f06c442, v201
	v_fmac_f32_e32 v201, 0xbf06c442, v84
	v_fmamk_f32 v206, v204, 0xbf59a7d5, v188
	v_fma_f32 v188, 0xbf59a7d5, v204, -v188
	s_delay_alu instid0(VALU_DEP_2) | instskip(SKIP_1) | instid1(VALU_DEP_3)
	v_dual_add_f32 v195, v201, v195 :: v_dual_add_f32 v192, v206, v192
	v_dual_add_f32 v191, v191, v198 :: v_dual_fmamk_f32 v198, v204, 0xbf1a4643, v193
	v_add_f32_e32 v188, v188, v197
	s_delay_alu instid0(VALU_DEP_2) | instskip(SKIP_1) | instid1(VALU_DEP_2)
	v_dual_mul_f32 v197, 0x3f2c7751, v205 :: v_dual_add_f32 v198, v198, v199
	v_fma_f32 v193, 0xbf1a4643, v204, -v193
	v_fmamk_f32 v199, v204, 0x3f3d2fb0, v197
	s_delay_alu instid0(VALU_DEP_1) | instskip(SKIP_4) | instid1(VALU_DEP_1)
	v_dual_add_f32 v193, v193, v196 :: v_dual_add_f32 v196, v199, v202
	v_sub_f32_e32 v199, v87, v89
	v_add_f32_e32 v87, v89, v87
	v_fmamk_f32 v201, v84, 0xbf4c4adb, v194
	v_dual_fmac_f32 v194, 0x3f4c4adb, v84 :: v_dual_add_f32 v89, v88, v86
	v_add_f32_e32 v194, v194, v203
	s_delay_alu instid0(VALU_DEP_3) | instskip(SKIP_4) | instid1(VALU_DEP_4)
	v_add_f32_e32 v200, v201, v200
	v_fma_f32 v197, 0x3f3d2fb0, v204, -v197
	v_fmamk_f32 v201, v84, 0xbf2c7751, v85
	v_mul_f32_e32 v202, 0xbf763a35, v199
	v_fmac_f32_e32 v85, 0x3f2c7751, v84
	v_dual_sub_f32 v84, v86, v88 :: v_dual_add_f32 v97, v197, v97
	v_mul_f32_e32 v86, 0xbe8c1d8e, v87
	v_add_f32_e32 v88, v201, v99
	v_fmamk_f32 v99, v89, 0xbe8c1d8e, v202
	v_add_f32_e32 v85, v85, v93
	v_mul_f32_e32 v201, 0xbf59a7d5, v87
	v_fmamk_f32 v93, v84, 0x3f763a35, v86
	v_fmac_f32_e32 v86, 0xbf763a35, v84
	v_dual_mul_f32 v197, 0x3f06c442, v199 :: v_dual_add_f32 v92, v99, v92
	v_fma_f32 v99, 0xbe8c1d8e, v89, -v202
	s_delay_alu instid0(VALU_DEP_3) | instskip(SKIP_1) | instid1(VALU_DEP_3)
	v_dual_add_f32 v93, v93, v100 :: v_dual_add_f32 v86, v86, v90
	v_mul_f32_e32 v90, 0x3f2c7751, v199
	v_dual_fmamk_f32 v100, v89, 0xbf59a7d5, v197 :: v_dual_add_f32 v91, v99, v91
	v_mul_f32_e32 v202, 0x3f3d2fb0, v87
	s_delay_alu instid0(VALU_DEP_2) | instskip(SKIP_4) | instid1(VALU_DEP_4)
	v_add_f32_e32 v94, v100, v94
	v_fma_f32 v100, 0xbf59a7d5, v89, -v197
	v_fmamk_f32 v197, v89, 0x3f3d2fb0, v90
	v_fmamk_f32 v99, v84, 0xbf06c442, v201
	v_fma_f32 v90, 0x3f3d2fb0, v89, -v90
	v_add_f32_e32 v95, v100, v95
	s_delay_alu instid0(VALU_DEP_4) | instskip(NEXT) | instid1(VALU_DEP_4)
	v_dual_add_f32 v100, v197, v183 :: v_dual_fmac_f32 v201, 0x3f06c442, v84
	v_dual_add_f32 v98, v99, v98 :: v_dual_mul_f32 v183, 0xbf65296c, v199
	s_delay_alu instid0(VALU_DEP_4) | instskip(NEXT) | instid1(VALU_DEP_3)
	v_dual_mul_f32 v197, 0x3ee437d1, v87 :: v_dual_add_f32 v90, v90, v96
	v_add_f32_e32 v99, v201, v101
	v_fmamk_f32 v101, v84, 0xbf2c7751, v202
	v_fmac_f32_e32 v202, 0x3f2c7751, v84
	v_mul_f32_e32 v201, 0xbe3c28d5, v199
	s_delay_alu instid0(VALU_DEP_2) | instskip(SKIP_4) | instid1(VALU_DEP_4)
	v_dual_add_f32 v96, v202, v103 :: v_dual_add_f32 v101, v101, v102
	v_fmamk_f32 v102, v89, 0x3ee437d1, v183
	v_fmamk_f32 v103, v84, 0x3f65296c, v197
	v_fmac_f32_e32 v197, 0xbf65296c, v84
	v_mul_f32_e32 v202, 0x3dbcf732, v87
	v_add_f32_e32 v102, v102, v189
	v_fma_f32 v183, 0x3ee437d1, v89, -v183
	v_mul_f32_e32 v189, 0xbf7ba420, v87
	s_delay_alu instid0(VALU_DEP_2) | instskip(SKIP_2) | instid1(VALU_DEP_2)
	v_dual_add_f32 v183, v183, v186 :: v_dual_add_f32 v186, v197, v187
	v_dual_add_f32 v103, v103, v166 :: v_dual_fmamk_f32 v166, v89, 0xbf7ba420, v201
	v_mul_f32_e32 v187, 0x3f7ee86f, v199
	v_dual_add_f32 v165, v166, v165 :: v_dual_fmamk_f32 v166, v84, 0x3e3c28d5, v189
	s_delay_alu instid0(VALU_DEP_1)
	v_add_f32_e32 v166, v166, v190
	v_fmamk_f32 v190, v84, 0xbf7ee86f, v202
	v_fma_f32 v197, 0xbf7ba420, v89, -v201
	v_fmac_f32_e32 v202, 0x3f7ee86f, v84
	v_fmamk_f32 v201, v89, 0x3dbcf732, v187
	v_fma_f32 v187, 0x3dbcf732, v89, -v187
	v_add_f32_e32 v190, v190, v191
	v_dual_add_f32 v184, v197, v184 :: v_dual_mul_f32 v197, 0x3f6eb680, v87
	v_fmac_f32_e32 v189, 0xbe3c28d5, v84
	s_delay_alu instid0(VALU_DEP_2) | instskip(NEXT) | instid1(VALU_DEP_1)
	v_dual_add_f32 v187, v187, v188 :: v_dual_fmamk_f32 v188, v84, 0x3eb8f4ab, v197
	v_dual_add_f32 v185, v189, v185 :: v_dual_add_f32 v188, v188, v200
	v_dual_add_f32 v189, v201, v192 :: v_dual_mul_f32 v192, 0xbeb8f4ab, v199
	v_mul_f32_e32 v199, 0xbf4c4adb, v199
	v_add_f32_e32 v195, v202, v195
	s_delay_alu instid0(VALU_DEP_3) | instskip(SKIP_1) | instid1(VALU_DEP_1)
	v_fmamk_f32 v191, v89, 0x3f6eb680, v192
	v_fma_f32 v192, 0x3f6eb680, v89, -v192
	v_dual_add_f32 v192, v192, v193 :: v_dual_sub_f32 v193, v77, v83
	v_add_f32_e32 v77, v83, v77
	v_mul_f32_e32 v87, 0xbf1a4643, v87
	s_delay_alu instid0(VALU_DEP_3) | instskip(SKIP_1) | instid1(VALU_DEP_1)
	v_dual_mul_f32 v200, 0xbf4c4adb, v193 :: v_dual_add_f32 v191, v191, v198
	v_fmamk_f32 v198, v89, 0xbf1a4643, v199
	v_add_f32_e32 v196, v198, v196
	v_fmac_f32_e32 v197, 0xbeb8f4ab, v84
	v_add_f32_e32 v198, v82, v76
	v_sub_f32_e32 v76, v76, v82
	s_delay_alu instid0(VALU_DEP_3) | instskip(SKIP_4) | instid1(VALU_DEP_4)
	v_dual_add_f32 v194, v197, v194 :: v_dual_fmamk_f32 v197, v84, 0x3f4c4adb, v87
	v_fma_f32 v83, 0xbf1a4643, v89, -v199
	v_fmac_f32_e32 v87, 0xbf4c4adb, v84
	v_fmamk_f32 v82, v198, 0xbf1a4643, v200
	v_mul_f32_e32 v84, 0xbf1a4643, v77
	v_add_f32_e32 v83, v83, v97
	v_mul_f32_e32 v97, 0xbe8c1d8e, v77
	s_delay_alu instid0(VALU_DEP_4) | instskip(NEXT) | instid1(VALU_DEP_4)
	v_dual_add_f32 v85, v87, v85 :: v_dual_add_f32 v82, v82, v92
	v_fmamk_f32 v87, v76, 0x3f4c4adb, v84
	v_mul_f32_e32 v89, 0x3f763a35, v193
	v_fma_f32 v92, 0xbf1a4643, v198, -v200
	s_delay_alu instid0(VALU_DEP_1) | instskip(SKIP_2) | instid1(VALU_DEP_3)
	v_dual_fmac_f32 v84, 0xbf4c4adb, v76 :: v_dual_add_f32 v91, v92, v91
	v_mul_f32_e32 v92, 0xbeb8f4ab, v193
	v_add_f32_e32 v87, v87, v93
	v_dual_fmamk_f32 v93, v198, 0xbe8c1d8e, v89 :: v_dual_add_f32 v84, v84, v86
	v_fmamk_f32 v86, v76, 0xbf763a35, v97
	s_delay_alu instid0(VALU_DEP_1) | instskip(SKIP_1) | instid1(VALU_DEP_4)
	v_dual_fmac_f32 v97, 0x3f763a35, v76 :: v_dual_add_f32 v86, v86, v98
	v_add_f32_e32 v88, v197, v88
	v_dual_add_f32 v93, v93, v94 :: v_dual_mul_f32 v98, 0x3f6eb680, v77
	v_fmamk_f32 v94, v198, 0x3f6eb680, v92
	v_fma_f32 v92, 0x3f6eb680, v198, -v92
	s_delay_alu instid0(VALU_DEP_2) | instskip(NEXT) | instid1(VALU_DEP_2)
	v_dual_mul_f32 v197, 0xbf59a7d5, v77 :: v_dual_add_f32 v94, v94, v100
	v_add_f32_e32 v90, v92, v90
	v_fma_f32 v89, 0xbe8c1d8e, v198, -v89
	s_delay_alu instid0(VALU_DEP_1) | instskip(SKIP_4) | instid1(VALU_DEP_3)
	v_add_f32_e32 v89, v89, v95
	v_add_f32_e32 v95, v97, v99
	v_mul_f32_e32 v97, 0xbf06c442, v193
	v_fmamk_f32 v99, v76, 0x3eb8f4ab, v98
	v_fmac_f32_e32 v98, 0xbeb8f4ab, v76
	v_fmamk_f32 v100, v198, 0xbf59a7d5, v97
	s_delay_alu instid0(VALU_DEP_2) | instskip(SKIP_1) | instid1(VALU_DEP_3)
	v_add_f32_e32 v92, v98, v96
	v_fmamk_f32 v98, v76, 0x3f06c442, v197
	v_dual_fmac_f32 v197, 0xbf06c442, v76 :: v_dual_add_f32 v96, v100, v102
	v_mul_f32_e32 v100, 0x3f7ee86f, v193
	s_delay_alu instid0(VALU_DEP_2) | instskip(SKIP_1) | instid1(VALU_DEP_3)
	v_dual_add_f32 v98, v98, v103 :: v_dual_add_f32 v103, v197, v186
	v_mul_f32_e32 v197, 0xbf7ba420, v77
	v_fmamk_f32 v102, v198, 0x3dbcf732, v100
	v_fma_f32 v100, 0x3dbcf732, v198, -v100
	s_delay_alu instid0(VALU_DEP_2) | instskip(SKIP_1) | instid1(VALU_DEP_3)
	v_add_f32_e32 v102, v102, v165
	v_add_f32_e32 v99, v99, v101
	v_dual_mul_f32 v101, 0x3dbcf732, v77 :: v_dual_add_f32 v100, v100, v184
	v_fma_f32 v97, 0xbf59a7d5, v198, -v97
	s_delay_alu instid0(VALU_DEP_1) | instskip(NEXT) | instid1(VALU_DEP_3)
	v_dual_mul_f32 v184, 0xbe3c28d5, v193 :: v_dual_add_f32 v97, v97, v183
	v_fmamk_f32 v183, v76, 0xbf7ee86f, v101
	s_delay_alu instid0(VALU_DEP_1) | instskip(NEXT) | instid1(VALU_DEP_1)
	v_dual_mul_f32 v186, 0xbf2c7751, v193 :: v_dual_add_f32 v165, v183, v166
	v_dual_fmamk_f32 v166, v198, 0x3f3d2fb0, v186 :: v_dual_mul_f32 v183, 0x3f3d2fb0, v77
	v_fma_f32 v186, 0x3f3d2fb0, v198, -v186
	v_mul_f32_e32 v77, 0x3ee437d1, v77
	s_delay_alu instid0(VALU_DEP_3) | instskip(SKIP_1) | instid1(VALU_DEP_4)
	v_add_f32_e32 v166, v166, v189
	v_fmamk_f32 v189, v198, 0xbf7ba420, v184
	v_add_f32_e32 v186, v186, v187
	v_fma_f32 v184, 0xbf7ba420, v198, -v184
	s_delay_alu instid0(VALU_DEP_3) | instskip(SKIP_4) | instid1(VALU_DEP_4)
	v_add_f32_e32 v187, v189, v191
	v_fmamk_f32 v189, v76, 0x3e3c28d5, v197
	v_fmamk_f32 v191, v76, 0xbf65296c, v77
	v_fmac_f32_e32 v197, 0xbe3c28d5, v76
	v_add_f32_e32 v184, v184, v192
	v_add_f32_e32 v188, v189, v188
	v_fmac_f32_e32 v101, 0x3f7ee86f, v76
	v_add_f32_e32 v88, v191, v88
	v_add_f32_e32 v192, v197, v194
	s_delay_alu instid0(VALU_DEP_3) | instskip(SKIP_4) | instid1(VALU_DEP_4)
	v_add_f32_e32 v101, v101, v185
	v_fmamk_f32 v185, v76, 0x3f2c7751, v183
	v_fmac_f32_e32 v183, 0xbf2c7751, v76
	v_fmac_f32_e32 v77, 0x3f65296c, v76
	v_dual_sub_f32 v76, v78, v80 :: v_dual_add_f32 v191, v80, v78
	v_dual_add_f32 v185, v185, v190 :: v_dual_mul_f32 v190, 0x3f65296c, v193
	v_sub_f32_e32 v193, v79, v81
	v_add_f32_e32 v79, v81, v79
	s_delay_alu instid0(VALU_DEP_1) | instskip(NEXT) | instid1(VALU_DEP_3)
	v_dual_add_f32 v77, v77, v85 :: v_dual_mul_f32 v78, 0xbf59a7d5, v79
	v_mul_f32_e32 v81, 0xbf06c442, v193
	v_mul_f32_e32 v85, 0x3f65296c, v193
	s_delay_alu instid0(VALU_DEP_2) | instskip(SKIP_2) | instid1(VALU_DEP_3)
	v_fmamk_f32 v80, v191, 0xbf59a7d5, v81
	v_fmamk_f32 v189, v198, 0x3ee437d1, v190
	v_fma_f32 v190, 0x3ee437d1, v198, -v190
	v_add_f32_e32 v80, v80, v82
	s_delay_alu instid0(VALU_DEP_2) | instskip(SKIP_3) | instid1(VALU_DEP_4)
	v_dual_fmamk_f32 v82, v191, 0x3ee437d1, v85 :: v_dual_add_f32 v83, v190, v83
	v_fmamk_f32 v190, v76, 0x3f06c442, v78
	v_fmac_f32_e32 v78, 0xbf06c442, v76
	v_fma_f32 v85, 0x3ee437d1, v191, -v85
	v_dual_add_f32 v82, v82, v93 :: v_dual_add_f32 v183, v183, v195
	s_delay_alu instid0(VALU_DEP_4) | instskip(SKIP_3) | instid1(VALU_DEP_1)
	v_add_f32_e32 v87, v190, v87
	v_dual_mul_f32 v190, 0x3ee437d1, v79 :: v_dual_add_f32 v189, v189, v196
	v_add_f32_e32 v78, v78, v84
	v_mul_f32_e32 v84, 0xbf7ee86f, v193
	v_dual_mul_f32 v93, 0x3dbcf732, v79 :: v_dual_fmamk_f32 v194, v191, 0x3dbcf732, v84
	v_fma_f32 v84, 0x3dbcf732, v191, -v84
	s_delay_alu instid0(VALU_DEP_2) | instskip(NEXT) | instid1(VALU_DEP_2)
	v_add_f32_e32 v94, v194, v94
	v_add_f32_e32 v84, v84, v90
	v_fma_f32 v81, 0xbf59a7d5, v191, -v81
	s_delay_alu instid0(VALU_DEP_1) | instskip(SKIP_2) | instid1(VALU_DEP_2)
	v_add_f32_e32 v81, v81, v91
	v_fmamk_f32 v91, v76, 0xbf65296c, v190
	v_fmac_f32_e32 v190, 0x3f65296c, v76
	v_dual_add_f32 v86, v91, v86 :: v_dual_fmamk_f32 v91, v76, 0x3f7ee86f, v93
	v_fmac_f32_e32 v93, 0xbf7ee86f, v76
	s_delay_alu instid0(VALU_DEP_1) | instskip(SKIP_4) | instid1(VALU_DEP_1)
	v_dual_add_f32 v91, v91, v99 :: v_dual_add_f32 v90, v93, v92
	v_mul_f32_e32 v92, 0xbeb8f4ab, v193
	v_add_f32_e32 v85, v85, v89
	v_add_f32_e32 v89, v190, v95
	v_mul_f32_e32 v95, 0x3f4c4adb, v193
	v_dual_mul_f32 v99, 0xbf1a4643, v79 :: v_dual_fmamk_f32 v190, v191, 0xbf1a4643, v95
	s_delay_alu instid0(VALU_DEP_1) | instskip(SKIP_2) | instid1(VALU_DEP_4)
	v_fmamk_f32 v93, v76, 0xbf4c4adb, v99
	v_fma_f32 v95, 0xbf1a4643, v191, -v95
	v_fmac_f32_e32 v99, 0x3f4c4adb, v76
	v_add_f32_e32 v96, v190, v96
	s_delay_alu instid0(VALU_DEP_4) | instskip(NEXT) | instid1(VALU_DEP_4)
	v_dual_fmamk_f32 v190, v191, 0x3f6eb680, v92 :: v_dual_add_f32 v93, v93, v98
	v_dual_mul_f32 v98, 0x3f6eb680, v79 :: v_dual_add_f32 v95, v95, v97
	s_delay_alu instid0(VALU_DEP_4) | instskip(NEXT) | instid1(VALU_DEP_3)
	v_add_f32_e32 v97, v99, v103
	v_dual_add_f32 v99, v190, v102 :: v_dual_mul_f32 v102, 0xbe3c28d5, v193
	s_delay_alu instid0(VALU_DEP_3) | instskip(SKIP_4) | instid1(VALU_DEP_4)
	v_fmamk_f32 v103, v76, 0x3eb8f4ab, v98
	v_fma_f32 v92, 0x3f6eb680, v191, -v92
	v_fmac_f32_e32 v98, 0xbeb8f4ab, v76
	v_mul_f32_e32 v190, 0xbf7ba420, v79
	v_fmamk_f32 v194, v191, 0xbf7ba420, v102
	v_dual_add_f32 v103, v103, v165 :: v_dual_add_f32 v92, v92, v100
	s_delay_alu instid0(VALU_DEP_4) | instskip(NEXT) | instid1(VALU_DEP_4)
	v_add_f32_e32 v98, v98, v101
	v_fmamk_f32 v100, v76, 0x3e3c28d5, v190
	s_delay_alu instid0(VALU_DEP_4) | instskip(SKIP_3) | instid1(VALU_DEP_4)
	v_dual_fmac_f32 v190, 0xbe3c28d5, v76 :: v_dual_add_f32 v101, v194, v166
	v_mul_f32_e32 v166, 0x3f3d2fb0, v79
	v_mul_f32_e32 v165, 0x3f2c7751, v193
	v_fma_f32 v102, 0xbf7ba420, v191, -v102
	v_dual_add_f32 v100, v100, v185 :: v_dual_add_f32 v183, v190, v183
	s_delay_alu instid0(VALU_DEP_4) | instskip(SKIP_1) | instid1(VALU_DEP_4)
	v_fmamk_f32 v190, v76, 0xbf2c7751, v166
	v_fmac_f32_e32 v166, 0x3f2c7751, v76
	v_dual_fmamk_f32 v185, v191, 0x3f3d2fb0, v165 :: v_dual_add_f32 v102, v102, v186
	v_mul_f32_e32 v186, 0xbf763a35, v193
	v_fma_f32 v165, 0x3f3d2fb0, v191, -v165
	s_delay_alu instid0(VALU_DEP_3) | instskip(NEXT) | instid1(VALU_DEP_3)
	v_dual_add_f32 v166, v166, v192 :: v_dual_add_f32 v185, v185, v187
	v_dual_add_f32 v188, v190, v188 :: v_dual_fmamk_f32 v187, v191, 0xbe8c1d8e, v186
	v_add_f32_e32 v190, v75, v73
	v_fma_f32 v186, 0xbe8c1d8e, v191, -v186
	v_add_f32_e32 v191, v74, v72
	s_delay_alu instid0(VALU_DEP_4) | instskip(SKIP_4) | instid1(VALU_DEP_3)
	v_dual_add_f32 v165, v165, v184 :: v_dual_add_f32 v184, v187, v189
	v_dual_sub_f32 v192, v72, v74 :: v_dual_sub_f32 v187, v73, v75
	v_mul_f32_e32 v75, 0xbf7ba420, v190
	v_mul_f32_e32 v79, 0xbe8c1d8e, v79
	v_dual_add_f32 v186, v186, v83 :: v_dual_mul_f32 v83, 0xbf59a7d5, v190
	v_fmamk_f32 v74, v192, 0x3e3c28d5, v75
	v_mul_f32_e32 v73, 0xbe3c28d5, v187
	s_delay_alu instid0(VALU_DEP_4) | instskip(SKIP_2) | instid1(VALU_DEP_4)
	v_fmamk_f32 v189, v76, 0x3f763a35, v79
	v_fmac_f32_e32 v79, 0xbf763a35, v76
	v_fmac_f32_e32 v75, 0xbe3c28d5, v192
	v_fmamk_f32 v72, v191, 0xbf7ba420, v73
	s_delay_alu instid0(VALU_DEP_1) | instskip(NEXT) | instid1(VALU_DEP_4)
	v_dual_add_f32 v75, v75, v78 :: v_dual_add_f32 v72, v72, v80
	v_dual_mul_f32 v80, 0x3f6eb680, v190 :: v_dual_add_f32 v193, v79, v77
	v_mul_f32_e32 v77, 0x3eb8f4ab, v187
	v_fma_f32 v76, 0xbf7ba420, v191, -v73
	s_delay_alu instid0(VALU_DEP_3) | instskip(SKIP_1) | instid1(VALU_DEP_3)
	v_dual_add_f32 v73, v74, v87 :: v_dual_fmamk_f32 v78, v192, 0xbeb8f4ab, v80
	v_fmac_f32_e32 v80, 0x3eb8f4ab, v192
	v_dual_fmamk_f32 v79, v191, 0x3f6eb680, v77 :: v_dual_add_f32 v74, v76, v81
	v_mul_f32_e32 v81, 0xbf06c442, v187
	v_mul_f32_e32 v87, 0x3f3d2fb0, v190
	s_delay_alu instid0(VALU_DEP_3) | instskip(SKIP_1) | instid1(VALU_DEP_4)
	v_dual_add_f32 v76, v79, v82 :: v_dual_add_f32 v189, v189, v88
	v_fma_f32 v79, 0x3f6eb680, v191, -v77
	v_dual_fmamk_f32 v82, v191, 0xbf59a7d5, v81 :: v_dual_add_f32 v77, v78, v86
	v_fma_f32 v86, 0xbf59a7d5, v191, -v81
	s_delay_alu instid0(VALU_DEP_3) | instskip(NEXT) | instid1(VALU_DEP_3)
	v_dual_add_f32 v78, v79, v85 :: v_dual_mul_f32 v85, 0x3f2c7751, v187
	v_dual_add_f32 v79, v80, v89 :: v_dual_add_f32 v80, v82, v94
	v_fmamk_f32 v82, v192, 0x3f06c442, v83
	v_fmac_f32_e32 v83, 0xbf06c442, v192
	s_delay_alu instid0(VALU_DEP_4) | instskip(SKIP_1) | instid1(VALU_DEP_4)
	v_fmamk_f32 v88, v191, 0x3f3d2fb0, v85
	v_mul_f32_e32 v89, 0xbf4c4adb, v187
	v_add_f32_e32 v81, v82, v91
	v_add_f32_e32 v82, v86, v84
	v_fmamk_f32 v86, v192, 0xbf2c7751, v87
	v_add_f32_e32 v84, v88, v96
	v_fma_f32 v88, 0x3f3d2fb0, v191, -v85
	v_mul_f32_e32 v91, 0xbf1a4643, v190
	v_add_f32_e32 v83, v83, v90
	v_fmamk_f32 v90, v191, 0xbf1a4643, v89
	v_fmac_f32_e32 v87, 0x3f2c7751, v192
	v_dual_add_f32 v85, v86, v93 :: v_dual_mul_f32 v96, 0x3ee437d1, v190
	v_add_f32_e32 v86, v88, v95
	v_mul_f32_e32 v93, 0x3f65296c, v187
	v_add_f32_e32 v88, v90, v99
	v_fmamk_f32 v90, v192, 0x3f4c4adb, v91
	v_fma_f32 v94, 0xbf1a4643, v191, -v89
	v_add_f32_e32 v87, v87, v97
	v_mul_f32_e32 v97, 0xbf763a35, v187
	v_fmac_f32_e32 v91, 0xbf4c4adb, v192
	v_add_f32_e32 v89, v90, v103
	v_add_f32_e32 v90, v94, v92
	v_fmamk_f32 v94, v192, 0xbf65296c, v96
	v_fmac_f32_e32 v96, 0x3f65296c, v192
	v_fmamk_f32 v95, v191, 0x3ee437d1, v93
	v_mul_f32_e32 v99, 0xbe8c1d8e, v190
	v_add_f32_e32 v91, v91, v98
	v_fmamk_f32 v98, v191, 0xbe8c1d8e, v97
	s_delay_alu instid0(VALU_DEP_4) | instskip(SKIP_3) | instid1(VALU_DEP_3)
	v_dual_mul_f32 v103, 0x3dbcf732, v190 :: v_dual_add_f32 v92, v95, v101
	v_fma_f32 v95, 0x3ee437d1, v191, -v93
	v_dual_add_f32 v93, v94, v100 :: v_dual_fmamk_f32 v100, v192, 0x3f763a35, v99
	v_fma_f32 v101, 0xbe8c1d8e, v191, -v97
	v_dual_fmac_f32 v99, 0xbf763a35, v192 :: v_dual_add_f32 v94, v95, v102
	v_mul_f32_e32 v102, 0x3f7ee86f, v187
	v_dual_add_f32 v95, v96, v183 :: v_dual_add_f32 v96, v98, v185
	s_delay_alu instid0(VALU_DEP_4) | instskip(NEXT) | instid1(VALU_DEP_3)
	v_dual_add_f32 v97, v100, v188 :: v_dual_add_f32 v98, v101, v165
	v_fmamk_f32 v100, v191, 0x3dbcf732, v102
	v_fmamk_f32 v101, v192, 0xbf7ee86f, v103
	v_fma_f32 v102, 0x3dbcf732, v191, -v102
	v_fmac_f32_e32 v103, 0x3f7ee86f, v192
	s_delay_alu instid0(VALU_DEP_4) | instskip(NEXT) | instid1(VALU_DEP_3)
	v_dual_add_f32 v99, v99, v166 :: v_dual_add_f32 v100, v100, v184
	v_dual_add_f32 v101, v101, v189 :: v_dual_add_f32 v102, v102, v186
	s_delay_alu instid0(VALU_DEP_3)
	v_add_f32_e32 v103, v103, v193
	ds_store_2addr_b64 v182, v[66:67], v[72:73] offset1:1
	ds_store_2addr_b64 v182, v[76:77], v[80:81] offset0:2 offset1:3
	ds_store_2addr_b64 v182, v[84:85], v[88:89] offset0:4 offset1:5
	;; [unrolled: 1-line block ×7, first 2 shown]
	ds_store_b64 v182, v[74:75] offset:128
	s_and_saveexec_b32 s0, vcc_lo
	s_cbranch_execz .LBB0_13
; %bb.12:
	v_dual_add_f32 v66, v69, v164 :: v_dual_add_f32 v67, v68, v163
	v_dual_add_f32 v80, v142, v65 :: v_dual_sub_f32 v81, v65, v142
	v_dual_sub_f32 v84, v64, v141 :: v_dual_add_f32 v85, v141, v64
	s_delay_alu instid0(VALU_DEP_3) | instskip(SKIP_2) | instid1(VALU_DEP_3)
	v_dual_add_f32 v66, v71, v66 :: v_dual_add_f32 v67, v70, v67
	v_dual_add_f32 v165, v160, v162 :: v_dual_sub_f32 v88, v161, v159
	v_dual_sub_f32 v223, v162, v160 :: v_dual_sub_f32 v90, v151, v157
	v_dual_add_f32 v66, v65, v66 :: v_dual_add_f32 v67, v64, v67
	v_dual_sub_f32 v224, v152, v158 :: v_dual_add_f32 v91, v157, v151
	v_dual_add_f32 v78, v63, v69 :: v_dual_sub_f32 v87, v68, v62
	s_delay_alu instid0(VALU_DEP_3) | instskip(SKIP_2) | instid1(VALU_DEP_3)
	v_dual_add_f32 v64, v144, v66 :: v_dual_add_f32 v65, v143, v67
	v_dual_add_f32 v79, v61, v71 :: v_dual_sub_f32 v82, v70, v60
	v_dual_add_f32 v86, v62, v68 :: v_dual_sub_f32 v77, v71, v61
	v_dual_add_f32 v64, v150, v64 :: v_dual_add_f32 v65, v149, v65
	v_dual_sub_f32 v76, v69, v63 :: v_dual_add_f32 v83, v60, v70
	v_dual_sub_f32 v94, v155, v153 :: v_dual_mul_f32 v229, 0xbf59a7d5, v80
	s_delay_alu instid0(VALU_DEP_3) | instskip(SKIP_3) | instid1(VALU_DEP_4)
	v_dual_add_f32 v64, v152, v64 :: v_dual_add_f32 v65, v151, v65
	v_mul_f32_e32 v234, 0x3eb8f4ab, v77
	v_mul_f32_e32 v236, 0xbe8c1d8e, v165
	;; [unrolled: 1-line block ×3, first 2 shown]
	v_dual_add_f32 v64, v162, v64 :: v_dual_add_f32 v65, v161, v65
	v_add_f32_e32 v89, v159, v161
	v_mul_f32_e32 v239, 0x3f65296c, v224
	s_delay_alu instid0(VALU_DEP_4) | instskip(NEXT) | instid1(VALU_DEP_4)
	v_fmamk_f32 v68, v83, 0xbe8c1d8e, v180
	v_dual_add_f32 v64, v156, v64 :: v_dual_add_f32 v65, v155, v65
	v_mul_f32_e32 v250, 0x3f65296c, v77
	v_dual_add_f32 v226, v154, v156 :: v_dual_add_f32 v95, v153, v155
	s_delay_alu instid0(VALU_DEP_3) | instskip(NEXT) | instid1(VALU_DEP_3)
	v_dual_add_f32 v64, v154, v64 :: v_dual_add_f32 v65, v153, v65
	v_fmamk_f32 v66, v83, 0x3ee437d1, v250
	v_mul_f32_e32 v240, 0xbf763a35, v223
	s_clause 0x1
	scratch_store_b32 off, v168, off offset:36
	scratch_store_b32 off, v172, off offset:52
	v_dual_add_f32 v64, v160, v64 :: v_dual_add_f32 v65, v159, v65
	v_dual_add_f32 v160, v158, v152 :: v_dual_add_f32 v97, v145, v143
	s_delay_alu instid0(VALU_DEP_2) | instskip(NEXT) | instid1(VALU_DEP_3)
	v_dual_mul_f32 v225, 0xbf7ba420, v78 :: v_dual_add_f32 v64, v158, v64
	v_add_f32_e32 v65, v157, v65
	v_sub_f32_e32 v92, v149, v147
	v_dual_add_f32 v158, v148, v150 :: v_dual_add_f32 v93, v147, v149
	s_delay_alu instid0(VALU_DEP_3) | instskip(SKIP_2) | instid1(VALU_DEP_3)
	v_dual_add_f32 v64, v148, v64 :: v_dual_add_f32 v65, v147, v65
	v_dual_sub_f32 v150, v150, v148 :: v_dual_sub_f32 v149, v144, v146
	v_dual_add_f32 v148, v146, v144 :: v_dual_mul_f32 v227, 0x3f6eb680, v79
	v_dual_add_f32 v65, v145, v65 :: v_dual_add_f32 v64, v146, v64
	v_sub_f32_e32 v228, v156, v154
	v_mul_f32_e32 v232, 0x3ee437d1, v160
	s_delay_alu instid0(VALU_DEP_3) | instskip(NEXT) | instid1(VALU_DEP_4)
	v_dual_mul_f32 v230, 0x3f3d2fb0, v148 :: v_dual_add_f32 v65, v141, v65
	v_add_f32_e32 v64, v142, v64
	v_sub_f32_e32 v96, v143, v145
	v_mul_f32_e32 v246, 0xbf1a4643, v148
	s_delay_alu instid0(VALU_DEP_4) | instskip(NEXT) | instid1(VALU_DEP_4)
	v_dual_mul_f32 v177, 0x3dbcf732, v158 :: v_dual_add_f32 v60, v60, v65
	v_dual_add_f32 v61, v61, v64 :: v_dual_fmamk_f32 v64, v84, 0x3f06c442, v229
	v_mul_f32_e32 v238, 0xbf4c4adb, v150
	s_delay_alu instid0(VALU_DEP_3) | instskip(NEXT) | instid1(VALU_DEP_3)
	v_dual_mul_f32 v231, 0xbf1a4643, v158 :: v_dual_add_f32 v60, v62, v60
	v_add_f32_e32 v61, v63, v61
	v_fmamk_f32 v62, v87, 0x3e3c28d5, v225
	v_fmamk_f32 v63, v82, 0xbeb8f4ab, v227
	v_mul_f32_e32 v252, 0xbf7ee86f, v81
	v_mul_f32_e32 v245, 0x3dbcf732, v80
	;; [unrolled: 1-line block ×3, first 2 shown]
	v_dual_add_f32 v62, v164, v62 :: v_dual_mul_f32 v233, 0xbe3c28d5, v76
	v_mul_f32_e32 v247, 0x3f6eb680, v158
	v_mul_f32_e32 v241, 0x3dbcf732, v226
	scratch_store_b64 off, v[60:61], off offset:64 ; 8-byte Folded Spill
	v_dual_add_f32 v62, v63, v62 :: v_dual_fmamk_f32 v63, v96, 0xbf2c7751, v230
	v_mul_f32_e32 v244, 0x3ee437d1, v79
	v_mul_f32_e32 v248, 0xbf7ba420, v160
	s_delay_alu instid0(VALU_DEP_3) | instskip(SKIP_1) | instid1(VALU_DEP_4)
	v_dual_mul_f32 v249, 0xbf06c442, v76 :: v_dual_add_f32 v62, v64, v62
	v_fmamk_f32 v64, v83, 0x3f6eb680, v234
	v_fmamk_f32 v65, v82, 0xbf65296c, v244
	v_mul_f32_e32 v254, 0xbeb8f4ab, v150
	v_dual_mul_f32 v255, 0xbe3c28d5, v224 :: v_dual_mov_b32 v172, v170
	v_dual_add_f32 v62, v63, v62 :: v_dual_fmamk_f32 v63, v92, 0x3f4c4adb, v231
	v_mul_f32_e32 v235, 0xbf06c442, v81
	v_mul_f32_e32 v178, 0x3f3d2fb0, v160
	;; [unrolled: 1-line block ×4, first 2 shown]
	v_dual_add_f32 v62, v63, v62 :: v_dual_fmamk_f32 v63, v90, 0xbf65296c, v232
	v_mul_f32_e32 v176, 0xbf59a7d5, v148
	v_mul_f32_e32 v206, 0xbf7ba420, v79
	v_dual_mul_f32 v220, 0xbe3c28d5, v150 :: v_dual_mul_f32 v215, 0xbe3c28d5, v77
	s_delay_alu instid0(VALU_DEP_4) | instskip(SKIP_3) | instid1(VALU_DEP_4)
	v_dual_add_f32 v62, v63, v62 :: v_dual_fmamk_f32 v63, v86, 0xbf7ba420, v233
	v_mul_f32_e32 v159, 0xbf7ee86f, v77
	v_mul_f32_e32 v145, 0x3dbcf732, v148
	;; [unrolled: 1-line block ×3, first 2 shown]
	v_dual_mul_f32 v204, 0x3f6eb680, v148 :: v_dual_add_f32 v63, v163, v63
	s_delay_alu instid0(VALU_DEP_4) | instskip(SKIP_2) | instid1(VALU_DEP_4)
	v_fmamk_f32 v98, v83, 0x3dbcf732, v159
	v_mul_f32_e32 v237, 0x3f2c7751, v149
	v_fmamk_f32 v72, v83, 0xbf7ba420, v215
	v_dual_mul_f32 v214, 0x3f7ee86f, v224 :: v_dual_add_f32 v63, v64, v63
	v_fmamk_f32 v64, v85, 0xbf59a7d5, v235
	v_dual_mul_f32 v194, 0xbf4c4adb, v77 :: v_dual_mul_f32 v153, 0xbf4c4adb, v224
	v_mul_f32_e32 v143, 0xbf1a4643, v160
	s_delay_alu instid0(VALU_DEP_3) | instskip(SKIP_1) | instid1(VALU_DEP_4)
	v_dual_mul_f32 v210, 0xbf4c4adb, v228 :: v_dual_add_f32 v63, v64, v63
	v_fmamk_f32 v64, v88, 0x3f763a35, v236
	v_fmamk_f32 v74, v83, 0xbf1a4643, v194
	v_mul_f32_e32 v202, 0xbf59a7d5, v160
	v_dual_mul_f32 v212, 0xbf7ee86f, v76 :: v_dual_mul_f32 v191, 0xbf7ee86f, v223
	s_delay_alu instid0(VALU_DEP_4) | instskip(SKIP_4) | instid1(VALU_DEP_4)
	v_add_f32_e32 v62, v64, v62
	v_fmamk_f32 v64, v97, 0x3f3d2fb0, v237
	v_mul_f32_e32 v208, 0xbf1a4643, v165
	v_dual_mul_f32 v192, 0xbf65296c, v76 :: v_dual_mul_f32 v161, 0xbf65296c, v81
	v_dual_mul_f32 v186, 0x3dbcf732, v165 :: v_dual_mul_f32 v151, 0x3dbcf732, v79
	v_dual_add_f32 v63, v64, v63 :: v_dual_fmamk_f32 v64, v93, 0xbf1a4643, v238
	v_mul_f32_e32 v188, 0xbf2c7751, v76
	v_mul_f32_e32 v162, 0x3ee437d1, v165
	;; [unrolled: 1-line block ×3, first 2 shown]
	s_delay_alu instid0(VALU_DEP_4) | instskip(SKIP_3) | instid1(VALU_DEP_3)
	v_dual_mul_f32 v218, 0x3eb8f4ab, v149 :: v_dual_add_f32 v63, v64, v63
	v_fmamk_f32 v64, v91, 0x3ee437d1, v239
	v_mul_f32_e32 v216, 0xbf65296c, v150
	v_dual_mul_f32 v182, 0x3f3d2fb0, v158 :: v_dual_mul_f32 v147, 0x3f3d2fb0, v79
	v_dual_mul_f32 v184, 0xbf7ba420, v80 :: v_dual_add_f32 v63, v64, v63
	v_fmamk_f32 v64, v89, 0xbe8c1d8e, v240
	v_mul_f32_e32 v243, 0xbf59a7d5, v78
	v_mul_f32_e32 v144, 0xbe8c1d8e, v158
	v_mul_f32_e32 v196, 0x3f763a35, v149
	v_mul_f32_e32 v152, 0xbf1a4643, v80
	v_dual_add_f32 v64, v64, v63 :: v_dual_fmamk_f32 v63, v94, 0xbf7ee86f, v241
	v_mul_f32_e32 v193, 0xbeb8f4ab, v224
	v_fmac_f32_e32 v230, 0x3f2c7751, v96
	v_fmac_f32_e32 v232, 0x3f65296c, v90
	s_delay_alu instid0(VALU_DEP_4)
	v_dual_fmac_f32 v236, 0xbf763a35, v88 :: v_dual_add_f32 v61, v63, v62
	v_fmamk_f32 v62, v95, 0x3dbcf732, v242
	v_mul_f32_e32 v251, 0x3f3d2fb0, v165
	v_mul_f32_e32 v253, 0x3f4c4adb, v149
	v_dual_mov_b32 v99, v110 :: v_dual_mov_b32 v100, v111
	v_mul_f32_e32 v111, 0x3f65296c, v228
	v_add_f32_e32 v60, v62, v64
	v_fmamk_f32 v64, v87, 0x3f06c442, v243
	v_mul_f32_e32 v110, 0x3ee437d1, v226
	v_mul_f32_e32 v142, 0xbf59a7d5, v165
	;; [unrolled: 1-line block ×3, first 2 shown]
	scratch_store_b64 off, v[60:61], off offset:72 ; 8-byte Folded Spill
	v_add_f32_e32 v64, v164, v64
	v_mul_f32_e32 v175, 0x3f6eb680, v80
	v_mul_f32_e32 v181, 0xbf7ba420, v165
	v_dual_mov_b32 v101, v133 :: v_dual_mov_b32 v102, v134
	s_delay_alu instid0(VALU_DEP_4)
	v_dual_mul_f32 v205, 0x3dbcf732, v78 :: v_dual_add_f32 v64, v65, v64
	v_fmamk_f32 v65, v84, 0x3f7ee86f, v245
	v_mul_f32_e32 v179, 0xbf4c4adb, v76
	v_mul_f32_e32 v109, 0xbe3c28d5, v223
	v_fmamk_f32 v71, v82, 0x3e3c28d5, v206
	v_mul_f32_e32 v207, 0xbe8c1d8e, v80
	v_dual_add_f32 v64, v65, v64 :: v_dual_fmamk_f32 v65, v96, 0xbf4c4adb, v246
	v_mul_f32_e32 v221, 0xbf65296c, v149
	v_mul_f32_e32 v211, 0xbeb8f4ab, v223
	;; [unrolled: 1-line block ×3, first 2 shown]
	s_delay_alu instid0(VALU_DEP_4) | instskip(SKIP_4) | instid1(VALU_DEP_4)
	v_dual_mul_f32 v203, 0x3ee437d1, v158 :: v_dual_add_f32 v64, v65, v64
	v_fmamk_f32 v65, v92, 0x3eb8f4ab, v247
	v_mul_f32_e32 v187, 0xbf1a4643, v79
	v_mul_f32_e32 v219, 0x3f763a35, v81
	;; [unrolled: 1-line block ×3, first 2 shown]
	v_dual_mul_f32 v217, 0x3f4c4adb, v223 :: v_dual_add_f32 v64, v65, v64
	v_fmamk_f32 v65, v90, 0x3e3c28d5, v248
	v_mul_f32_e32 v201, 0x3f2c7751, v228
	v_mul_f32_e32 v183, 0xbe8c1d8e, v148
	v_fmamk_f32 v73, v82, 0x3f4c4adb, v187
	s_delay_alu instid0(VALU_DEP_4)
	v_dual_mul_f32 v185, 0x3ee437d1, v78 :: v_dual_add_f32 v64, v65, v64
	v_fmamk_f32 v65, v86, 0xbf59a7d5, v249
	v_fmac_f32_e32 v227, 0x3eb8f4ab, v82
	v_mul_f32_e32 v189, 0xbf59a7d5, v226
	v_mul_f32_e32 v195, 0x3f2c7751, v150
	;; [unrolled: 1-line block ×3, first 2 shown]
	v_add_f32_e32 v65, v163, v65
	v_fmamk_f32 v75, v82, 0x3f7ee86f, v151
	v_fmac_f32_e32 v225, 0xbe3c28d5, v87
	v_fmac_f32_e32 v241, 0x3f7ee86f, v94
	s_delay_alu instid0(VALU_DEP_4) | instskip(SKIP_4) | instid1(VALU_DEP_4)
	v_dual_mul_f32 v154, 0xbf7ba420, v148 :: v_dual_add_f32 v65, v66, v65
	v_fmamk_f32 v66, v88, 0xbf2c7751, v251
	v_fmac_f32_e32 v243, 0xbf06c442, v87
	v_mul_f32_e32 v157, 0xbe8c1d8e, v160
	v_mul_f32_e32 v155, 0xbf59a7d5, v158
	v_dual_mul_f32 v103, 0xbf4c4adb, v81 :: v_dual_add_f32 v64, v66, v64
	v_fmamk_f32 v66, v85, 0x3dbcf732, v252
	v_fmac_f32_e32 v245, 0xbf7ee86f, v84
	v_fmac_f32_e32 v229, 0xbf06c442, v84
	;; [unrolled: 1-line block ×4, first 2 shown]
	v_dual_add_f32 v65, v66, v65 :: v_dual_fmamk_f32 v66, v97, 0xbf1a4643, v253
	v_fmac_f32_e32 v251, 0x3f2c7751, v88
	v_fmac_f32_e32 v187, 0xbf4c4adb, v82
	;; [unrolled: 1-line block ×3, first 2 shown]
	s_delay_alu instid0(VALU_DEP_4) | instskip(NEXT) | instid1(VALU_DEP_1)
	v_dual_add_f32 v65, v66, v65 :: v_dual_fmamk_f32 v66, v93, 0x3f6eb680, v254
	v_dual_add_f32 v65, v66, v65 :: v_dual_fmamk_f32 v66, v91, 0xbf7ba420, v255
	s_delay_alu instid0(VALU_DEP_1) | instskip(NEXT) | instid1(VALU_DEP_1)
	v_dual_add_f32 v65, v66, v65 :: v_dual_fmamk_f32 v66, v89, 0x3f3d2fb0, v168
	v_add_f32_e32 v66, v66, v65
	v_fmamk_f32 v65, v94, 0x3f763a35, v169
	v_fmac_f32_e32 v169, 0xbf763a35, v94
	s_delay_alu instid0(VALU_DEP_2) | instskip(SKIP_1) | instid1(VALU_DEP_2)
	v_dual_add_f32 v61, v65, v64 :: v_dual_fmamk_f32 v64, v95, 0xbe8c1d8e, v170
	v_fmac_f32_e32 v244, 0x3f65296c, v82
	v_add_f32_e32 v60, v64, v66
	s_clause 0x1
	scratch_store_b64 off, v[60:61], off offset:80
	scratch_store_b32 off, v171, off offset:48
	v_mul_f32_e32 v171, 0xbf1a4643, v78
	s_clause 0x2
	scratch_store_b32 off, v174, off offset:60
	scratch_store_b32 off, v106, off offset:88
	;; [unrolled: 1-line block ×3, first 2 shown]
	v_mul_f32_e32 v174, 0xbe8c1d8e, v79
	v_fmamk_f32 v66, v87, 0x3f4c4adb, v171
	s_clause 0x2
	scratch_store_b32 off, v173, off offset:56
	scratch_store_b32 off, v140, off offset:44
	;; [unrolled: 1-line block ×3, first 2 shown]
	v_fmamk_f32 v67, v82, 0xbf763a35, v174
	v_dual_mov_b32 v141, v126 :: v_dual_add_f32 v66, v164, v66
	v_dual_mov_b32 v60, v112 :: v_dual_mov_b32 v61, v113
	v_dual_mov_b32 v140, v125 :: v_dual_mul_f32 v113, 0xbf59a7d5, v79
	s_delay_alu instid0(VALU_DEP_3) | instskip(SKIP_2) | instid1(VALU_DEP_3)
	v_dual_add_f32 v66, v67, v66 :: v_dual_fmamk_f32 v67, v84, 0x3eb8f4ab, v175
	v_dual_mov_b32 v125, v135 :: v_dual_mov_b32 v64, v116
	v_mul_f32_e32 v173, 0xbeb8f4ab, v81
	v_dual_mov_b32 v65, v117 :: v_dual_add_f32 v66, v67, v66
	v_fmamk_f32 v67, v96, 0x3f06c442, v176
	v_mul_f32_e32 v116, 0xbf7ba420, v158
	v_dual_mov_b32 v62, v138 :: v_dual_mov_b32 v63, v139
	v_mov_b32_e32 v139, v115
	s_delay_alu instid0(VALU_DEP_4) | instskip(SKIP_2) | instid1(VALU_DEP_3)
	v_dual_add_f32 v66, v67, v66 :: v_dual_fmamk_f32 v67, v92, 0xbf7ee86f, v177
	v_dual_mul_f32 v106, 0xbf06c442, v149 :: v_dual_fmamk_f32 v69, v82, 0xbf06c442, v113
	v_dual_mov_b32 v138, v114 :: v_dual_mul_f32 v115, 0x3ee437d1, v148
	v_dual_add_f32 v66, v67, v66 :: v_dual_fmamk_f32 v67, v90, 0x3f2c7751, v178
	v_mul_f32_e32 v112, 0xbe8c1d8e, v78
	v_mul_f32_e32 v107, 0x3f7ee86f, v150
	v_dual_mul_f32 v117, 0x3dbcf732, v160 :: v_dual_mov_b32 v126, v136
	s_delay_alu instid0(VALU_DEP_4) | instskip(SKIP_2) | instid1(VALU_DEP_3)
	v_dual_add_f32 v66, v67, v66 :: v_dual_fmamk_f32 v67, v86, 0xbf1a4643, v179
	v_dual_mov_b32 v135, v130 :: v_dual_mul_f32 v114, 0x3f3d2fb0, v80
	v_mul_f32_e32 v108, 0xbf2c7751, v224
	v_dual_mov_b32 v134, v129 :: v_dual_add_f32 v67, v163, v67
	v_mul_f32_e32 v130, 0xbf763a35, v76
	v_fmamk_f32 v79, v82, 0x3f2c7751, v147
	v_mul_f32_e32 v148, 0xbf7ba420, v226
	s_delay_alu instid0(VALU_DEP_4)
	v_dual_mul_f32 v198, 0x3e3c28d5, v81 :: v_dual_add_f32 v67, v68, v67
	v_fmamk_f32 v68, v88, 0x3e3c28d5, v181
	v_mul_f32_e32 v160, 0xbf7ee86f, v149
	v_mul_f32_e32 v158, 0xbf763a35, v150
	;; [unrolled: 1-line block ×3, first 2 shown]
	v_fmac_f32_e32 v113, 0x3f06c442, v82
	v_add_f32_e32 v66, v68, v66
	v_fmamk_f32 v68, v85, 0x3f6eb680, v173
	v_mul_f32_e32 v149, 0xbe3c28d5, v228
	v_fmac_f32_e32 v181, 0xbe3c28d5, v88
	v_fma_f32 v81, 0x3dbcf732, v95, -v242
	s_delay_alu instid0(VALU_DEP_4)
	v_dual_fmac_f32 v246, 0x3f4c4adb, v96 :: v_dual_add_f32 v67, v68, v67
	v_fmamk_f32 v68, v97, 0xbf59a7d5, v106
	v_fmac_f32_e32 v248, 0xbe3c28d5, v90
	v_fmac_f32_e32 v178, 0xbf2c7751, v90
	v_fmac_f32_e32 v175, 0xbeb8f4ab, v84
	v_fma_f32 v106, 0xbf59a7d5, v97, -v106
	v_dual_add_f32 v67, v68, v67 :: v_dual_fmamk_f32 v68, v93, 0x3dbcf732, v107
	v_fmac_f32_e32 v177, 0x3f7ee86f, v92
	v_fmac_f32_e32 v147, 0xbf2c7751, v82
	;; [unrolled: 1-line block ×3, first 2 shown]
	s_delay_alu instid0(VALU_DEP_4) | instskip(SKIP_1) | instid1(VALU_DEP_1)
	v_dual_fmac_f32 v176, 0xbf06c442, v96 :: v_dual_add_f32 v67, v68, v67
	v_fmamk_f32 v68, v91, 0x3f3d2fb0, v108
	v_dual_add_f32 v67, v68, v67 :: v_dual_fmamk_f32 v68, v89, 0xbf7ba420, v109
	s_delay_alu instid0(VALU_DEP_1) | instskip(SKIP_1) | instid1(VALU_DEP_2)
	v_dual_add_f32 v68, v68, v67 :: v_dual_fmamk_f32 v67, v94, 0xbf65296c, v110
	v_fma_f32 v107, 0x3dbcf732, v93, -v107
	v_add_f32_e32 v137, v67, v66
	v_fmamk_f32 v66, v95, 0x3ee437d1, v111
	v_fmac_f32_e32 v174, 0x3f763a35, v82
	s_delay_alu instid0(VALU_DEP_2) | instskip(SKIP_3) | instid1(VALU_DEP_3)
	v_add_f32_e32 v136, v66, v68
	v_fmamk_f32 v68, v87, 0x3f763a35, v112
	v_dual_mov_b32 v66, v131 :: v_dual_mov_b32 v67, v132
	v_dual_mov_b32 v133, v122 :: v_dual_mov_b32 v132, v121
	v_dual_add_f32 v68, v164, v68 :: v_dual_mul_f32 v121, 0x3f6eb680, v165
	v_mul_f32_e32 v131, 0x3f06c442, v77
	v_mul_f32_e32 v165, 0xbf2c7751, v77
	v_mul_f32_e32 v200, 0x3f3d2fb0, v226
	s_delay_alu instid0(VALU_DEP_4) | instskip(NEXT) | instid1(VALU_DEP_4)
	v_dual_add_f32 v68, v69, v68 :: v_dual_fmamk_f32 v69, v84, 0xbf2c7751, v114
	v_fmamk_f32 v70, v83, 0xbf59a7d5, v131
	v_mul_f32_e32 v190, 0x3f6eb680, v78
	v_dual_mul_f32 v156, 0x3f3d2fb0, v78 :: v_dual_fmamk_f32 v77, v83, 0x3f3d2fb0, v165
	s_delay_alu instid0(VALU_DEP_4) | instskip(NEXT) | instid1(VALU_DEP_3)
	v_dual_add_f32 v68, v69, v68 :: v_dual_fmamk_f32 v69, v96, 0x3f65296c, v115
	v_fmamk_f32 v78, v87, 0x3eb8f4ab, v190
	v_fmac_f32_e32 v115, 0xbf65296c, v96
	v_fma_f32 v108, 0x3f3d2fb0, v91, -v108
	v_fmac_f32_e32 v112, 0xbf763a35, v87
	v_dual_add_f32 v68, v69, v68 :: v_dual_fmamk_f32 v69, v92, 0x3e3c28d5, v116
	v_add_f32_e32 v78, v164, v78
	v_mul_f32_e32 v146, 0x3ee437d1, v80
	v_fma_f32 v80, 0x3f6eb680, v83, -v234
	s_delay_alu instid0(VALU_DEP_4) | instskip(NEXT) | instid1(VALU_DEP_3)
	v_dual_add_f32 v68, v69, v68 :: v_dual_fmamk_f32 v69, v90, 0xbf7ee86f, v117
	v_dual_add_f32 v78, v79, v78 :: v_dual_fmamk_f32 v79, v84, 0x3f65296c, v146
	s_delay_alu instid0(VALU_DEP_2) | instskip(NEXT) | instid1(VALU_DEP_2)
	v_dual_fmac_f32 v117, 0x3f7ee86f, v90 :: v_dual_add_f32 v68, v69, v68
	v_dual_fmamk_f32 v69, v86, 0xbe8c1d8e, v130 :: v_dual_add_f32 v78, v79, v78
	v_fmamk_f32 v79, v96, 0x3f7ee86f, v145
	v_fmac_f32_e32 v145, 0xbf7ee86f, v96
	s_delay_alu instid0(VALU_DEP_3) | instskip(NEXT) | instid1(VALU_DEP_3)
	v_add_f32_e32 v69, v163, v69
	v_dual_add_f32 v78, v79, v78 :: v_dual_fmamk_f32 v79, v92, 0x3f763a35, v144
	s_delay_alu instid0(VALU_DEP_2) | instskip(NEXT) | instid1(VALU_DEP_2)
	v_dual_add_f32 v69, v70, v69 :: v_dual_fmamk_f32 v70, v88, 0x3eb8f4ab, v121
	v_dual_fmac_f32 v121, 0xbeb8f4ab, v88 :: v_dual_add_f32 v78, v79, v78
	v_fmamk_f32 v79, v90, 0x3f4c4adb, v143
	s_delay_alu instid0(VALU_DEP_3) | instskip(SKIP_1) | instid1(VALU_DEP_3)
	v_dual_fmac_f32 v143, 0xbf4c4adb, v90 :: v_dual_add_f32 v68, v70, v68
	v_fmamk_f32 v70, v85, 0x3f3d2fb0, v222
	v_dual_add_f32 v78, v79, v78 :: v_dual_fmamk_f32 v79, v88, 0x3f06c442, v142
	s_delay_alu instid0(VALU_DEP_2) | instskip(NEXT) | instid1(VALU_DEP_2)
	v_dual_add_f32 v69, v70, v69 :: v_dual_fmamk_f32 v70, v97, 0x3ee437d1, v221
	v_add_f32_e32 v78, v79, v78
	v_fma_f32 v79, 0xbf7ba420, v86, -v233
	s_delay_alu instid0(VALU_DEP_3) | instskip(NEXT) | instid1(VALU_DEP_2)
	v_dual_add_f32 v69, v70, v69 :: v_dual_fmamk_f32 v70, v93, 0xbf7ba420, v220
	v_add_f32_e32 v79, v163, v79
	s_delay_alu instid0(VALU_DEP_2) | instskip(NEXT) | instid1(VALU_DEP_2)
	v_dual_add_f32 v69, v70, v69 :: v_dual_fmamk_f32 v70, v91, 0x3dbcf732, v214
	v_dual_fmamk_f32 v76, v86, 0x3f6eb680, v199 :: v_dual_add_f32 v79, v80, v79
	v_fma_f32 v80, 0xbf59a7d5, v85, -v235
	s_delay_alu instid0(VALU_DEP_3) | instskip(NEXT) | instid1(VALU_DEP_2)
	v_dual_add_f32 v69, v70, v69 :: v_dual_fmamk_f32 v70, v89, 0x3f6eb680, v211
	v_dual_add_f32 v76, v163, v76 :: v_dual_add_f32 v79, v80, v79
	v_fma_f32 v80, 0x3f3d2fb0, v97, -v237
	s_delay_alu instid0(VALU_DEP_3) | instskip(NEXT) | instid1(VALU_DEP_3)
	v_add_f32_e32 v70, v70, v69
	v_dual_fmamk_f32 v69, v94, 0x3f4c4adb, v209 :: v_dual_add_f32 v76, v77, v76
	s_delay_alu instid0(VALU_DEP_3) | instskip(SKIP_2) | instid1(VALU_DEP_4)
	v_add_f32_e32 v79, v80, v79
	v_fma_f32 v80, 0xbf1a4643, v93, -v238
	v_fmamk_f32 v77, v85, 0x3ee437d1, v161
	v_dual_add_f32 v69, v69, v68 :: v_dual_fmamk_f32 v68, v95, 0xbf1a4643, v210
	v_fmac_f32_e32 v209, 0xbf4c4adb, v94
	s_delay_alu instid0(VALU_DEP_3) | instskip(NEXT) | instid1(VALU_DEP_3)
	v_dual_add_f32 v79, v80, v79 :: v_dual_add_f32 v76, v77, v76
	v_dual_fmamk_f32 v77, v97, 0x3dbcf732, v160 :: v_dual_add_f32 v68, v68, v70
	v_fmamk_f32 v70, v87, 0x3f7ee86f, v205
	v_fma_f32 v80, 0x3ee437d1, v91, -v239
	s_delay_alu instid0(VALU_DEP_3) | instskip(NEXT) | instid1(VALU_DEP_3)
	v_dual_fmac_f32 v205, 0xbf7ee86f, v87 :: v_dual_add_f32 v76, v77, v76
	v_dual_fmamk_f32 v77, v93, 0xbe8c1d8e, v158 :: v_dual_add_f32 v70, v164, v70
	s_delay_alu instid0(VALU_DEP_3) | instskip(SKIP_2) | instid1(VALU_DEP_4)
	v_add_f32_e32 v79, v80, v79
	v_fma_f32 v80, 0xbe8c1d8e, v89, -v240
	v_fmac_f32_e32 v114, 0x3f2c7751, v84
	v_add_f32_e32 v76, v77, v76
	v_dual_add_f32 v70, v71, v70 :: v_dual_fmamk_f32 v71, v84, 0xbf763a35, v207
	s_delay_alu instid0(VALU_DEP_4) | instskip(SKIP_2) | instid1(VALU_DEP_4)
	v_dual_fmamk_f32 v77, v91, 0xbf1a4643, v153 :: v_dual_add_f32 v80, v80, v79
	v_fmac_f32_e32 v207, 0x3f763a35, v84
	v_fmac_f32_e32 v144, 0xbf763a35, v92
	v_dual_add_f32 v70, v71, v70 :: v_dual_fmamk_f32 v71, v96, 0xbeb8f4ab, v204
	s_delay_alu instid0(VALU_DEP_4) | instskip(SKIP_1) | instid1(VALU_DEP_3)
	v_add_f32_e32 v76, v77, v76
	v_fmac_f32_e32 v116, 0xbe3c28d5, v92
	v_dual_add_f32 v70, v71, v70 :: v_dual_fmamk_f32 v71, v92, 0x3f65296c, v203
	s_delay_alu instid0(VALU_DEP_1) | instskip(SKIP_1) | instid1(VALU_DEP_1)
	v_dual_fmac_f32 v203, 0xbf65296c, v92 :: v_dual_add_f32 v70, v71, v70
	v_fmamk_f32 v71, v90, 0x3f06c442, v202
	v_dual_add_f32 v70, v71, v70 :: v_dual_fmamk_f32 v71, v86, 0x3dbcf732, v212
	s_delay_alu instid0(VALU_DEP_1) | instskip(NEXT) | instid1(VALU_DEP_1)
	v_add_f32_e32 v71, v163, v71
	v_add_f32_e32 v71, v72, v71
	v_fmamk_f32 v72, v88, 0xbf4c4adb, v208
	s_delay_alu instid0(VALU_DEP_1) | instskip(SKIP_1) | instid1(VALU_DEP_1)
	v_add_f32_e32 v70, v72, v70
	v_fmamk_f32 v72, v85, 0xbe8c1d8e, v219
	v_dual_add_f32 v71, v72, v71 :: v_dual_fmamk_f32 v72, v97, 0x3f6eb680, v218
	s_delay_alu instid0(VALU_DEP_1) | instskip(NEXT) | instid1(VALU_DEP_1)
	v_dual_add_f32 v71, v72, v71 :: v_dual_fmamk_f32 v72, v93, 0x3ee437d1, v216
	v_dual_add_f32 v71, v72, v71 :: v_dual_fmamk_f32 v72, v91, 0xbf59a7d5, v213
	s_delay_alu instid0(VALU_DEP_1) | instskip(NEXT) | instid1(VALU_DEP_1)
	v_dual_add_f32 v71, v72, v71 :: v_dual_fmamk_f32 v72, v89, 0xbf1a4643, v217
	v_dual_add_f32 v72, v72, v71 :: v_dual_fmamk_f32 v71, v94, 0xbf2c7751, v200
	s_delay_alu instid0(VALU_DEP_1) | instskip(SKIP_1) | instid1(VALU_DEP_1)
	v_add_f32_e32 v71, v71, v70
	v_fmamk_f32 v70, v95, 0x3f3d2fb0, v201
	v_add_f32_e32 v70, v70, v72
	v_fmamk_f32 v72, v87, 0x3f65296c, v185
	s_delay_alu instid0(VALU_DEP_1) | instskip(NEXT) | instid1(VALU_DEP_1)
	v_dual_fmac_f32 v185, 0xbf65296c, v87 :: v_dual_add_f32 v72, v164, v72
	v_dual_add_f32 v72, v73, v72 :: v_dual_fmamk_f32 v73, v84, 0xbe3c28d5, v184
	s_delay_alu instid0(VALU_DEP_1) | instskip(SKIP_1) | instid1(VALU_DEP_2)
	v_dual_add_f32 v72, v73, v72 :: v_dual_fmamk_f32 v73, v96, 0xbf763a35, v183
	v_fmac_f32_e32 v183, 0x3f763a35, v96
	v_dual_add_f32 v72, v73, v72 :: v_dual_fmamk_f32 v73, v92, 0xbf2c7751, v182
	v_fmac_f32_e32 v182, 0x3f2c7751, v92
	s_delay_alu instid0(VALU_DEP_2) | instskip(NEXT) | instid1(VALU_DEP_1)
	v_dual_add_f32 v72, v73, v72 :: v_dual_fmamk_f32 v73, v90, 0x3eb8f4ab, v166
	v_dual_add_f32 v72, v73, v72 :: v_dual_fmamk_f32 v73, v86, 0x3ee437d1, v192
	s_delay_alu instid0(VALU_DEP_1) | instskip(NEXT) | instid1(VALU_DEP_1)
	v_add_f32_e32 v73, v163, v73
	v_dual_add_f32 v73, v74, v73 :: v_dual_fmamk_f32 v74, v88, 0x3f7ee86f, v186
	v_fmac_f32_e32 v186, 0xbf7ee86f, v88
	s_delay_alu instid0(VALU_DEP_2) | instskip(SKIP_1) | instid1(VALU_DEP_1)
	v_add_f32_e32 v72, v74, v72
	v_fmamk_f32 v74, v85, 0xbf7ba420, v198
	v_dual_add_f32 v73, v74, v73 :: v_dual_fmamk_f32 v74, v97, 0xbe8c1d8e, v196
	s_delay_alu instid0(VALU_DEP_1) | instskip(SKIP_2) | instid1(VALU_DEP_3)
	v_dual_add_f32 v73, v74, v73 :: v_dual_fmamk_f32 v74, v93, 0x3f3d2fb0, v195
	v_fmac_f32_e32 v206, 0xbe3c28d5, v82
	v_fma_f32 v82, 0x3f3d2fb0, v83, -v165
	v_dual_add_f32 v73, v74, v73 :: v_dual_fmamk_f32 v74, v91, 0x3f6eb680, v193
	s_delay_alu instid0(VALU_DEP_1) | instskip(SKIP_2) | instid1(VALU_DEP_2)
	v_dual_fmac_f32 v204, 0x3eb8f4ab, v96 :: v_dual_add_f32 v73, v74, v73
	v_fmamk_f32 v74, v89, 0x3dbcf732, v191
	v_fmac_f32_e32 v202, 0xbf06c442, v90
	v_add_f32_e32 v74, v74, v73
	v_fmamk_f32 v73, v94, 0x3f06c442, v189
	v_mul_f32_e32 v197, 0xbf06c442, v228
	v_fmac_f32_e32 v189, 0xbf06c442, v94
	s_delay_alu instid0(VALU_DEP_2) | instskip(SKIP_1) | instid1(VALU_DEP_2)
	v_dual_add_f32 v73, v73, v72 :: v_dual_fmamk_f32 v72, v95, 0xbf59a7d5, v197
	v_fmac_f32_e32 v208, 0x3f4c4adb, v88
	v_add_f32_e32 v72, v72, v74
	v_fmamk_f32 v74, v87, 0x3f2c7751, v156
	v_fmac_f32_e32 v156, 0xbf2c7751, v87
	s_delay_alu instid0(VALU_DEP_2) | instskip(NEXT) | instid1(VALU_DEP_1)
	v_add_f32_e32 v74, v164, v74
	v_dual_add_f32 v74, v75, v74 :: v_dual_fmamk_f32 v75, v84, 0x3f4c4adb, v152
	v_fmac_f32_e32 v152, 0xbf4c4adb, v84
	s_delay_alu instid0(VALU_DEP_2) | instskip(NEXT) | instid1(VALU_DEP_1)
	v_dual_add_f32 v74, v75, v74 :: v_dual_fmamk_f32 v75, v96, 0x3e3c28d5, v154
	v_dual_add_f32 v74, v75, v74 :: v_dual_fmamk_f32 v75, v92, 0xbf06c442, v155
	s_delay_alu instid0(VALU_DEP_1) | instskip(SKIP_2) | instid1(VALU_DEP_2)
	v_dual_fmac_f32 v155, 0x3f06c442, v92 :: v_dual_add_f32 v74, v75, v74
	v_fmamk_f32 v75, v90, 0xbf763a35, v157
	v_fmac_f32_e32 v157, 0x3f763a35, v90
	v_dual_add_f32 v74, v75, v74 :: v_dual_fmamk_f32 v75, v86, 0x3f3d2fb0, v188
	s_delay_alu instid0(VALU_DEP_1) | instskip(NEXT) | instid1(VALU_DEP_1)
	v_dual_fmac_f32 v200, 0x3f2c7751, v94 :: v_dual_add_f32 v75, v163, v75
	v_dual_add_f32 v75, v98, v75 :: v_dual_fmamk_f32 v98, v88, 0xbf65296c, v162
	v_fmac_f32_e32 v162, 0x3f65296c, v88
	s_delay_alu instid0(VALU_DEP_2) | instskip(SKIP_1) | instid1(VALU_DEP_1)
	v_add_f32_e32 v74, v98, v74
	v_fmamk_f32 v98, v85, 0xbf1a4643, v103
	v_dual_add_f32 v75, v98, v75 :: v_dual_fmamk_f32 v98, v97, 0xbf7ba420, v129
	s_delay_alu instid0(VALU_DEP_1) | instskip(SKIP_4) | instid1(VALU_DEP_2)
	v_dual_add_f32 v75, v98, v75 :: v_dual_mul_f32 v98, 0x3f06c442, v150
	v_mul_f32_e32 v150, 0xbf06c442, v223
	scratch_store_b32 off, v98, off offset:108 ; 4-byte Folded Spill
	v_fmamk_f32 v77, v89, 0xbf59a7d5, v150
	v_fmamk_f32 v98, v93, 0xbf59a7d5, v98
	v_dual_add_f32 v76, v77, v76 :: v_dual_fmamk_f32 v77, v94, 0x3e3c28d5, v148
	s_delay_alu instid0(VALU_DEP_2) | instskip(NEXT) | instid1(VALU_DEP_2)
	v_dual_add_f32 v75, v98, v75 :: v_dual_mul_f32 v98, 0x3f763a35, v224
	v_dual_add_f32 v77, v77, v78 :: v_dual_fmamk_f32 v78, v95, 0xbf7ba420, v149
	scratch_store_b32 off, v98, off offset:104 ; 4-byte Folded Spill
	v_fmac_f32_e32 v166, 0xbeb8f4ab, v90
	v_add_f32_e32 v76, v78, v76
	v_add_f32_e32 v78, v164, v225
	s_delay_alu instid0(VALU_DEP_1) | instskip(NEXT) | instid1(VALU_DEP_1)
	v_add_f32_e32 v78, v227, v78
	v_add_f32_e32 v78, v229, v78
	s_delay_alu instid0(VALU_DEP_1) | instskip(NEXT) | instid1(VALU_DEP_1)
	;; [unrolled: 3-line block ×3, first 2 shown]
	v_add_f32_e32 v78, v232, v78
	v_add_f32_e32 v78, v236, v78
	s_delay_alu instid0(VALU_DEP_1) | instskip(SKIP_4) | instid1(VALU_DEP_2)
	v_add_f32_e32 v79, v241, v78
	v_add_f32_e32 v78, v81, v80
	;; [unrolled: 1-line block ×3, first 2 shown]
	v_fma_f32 v81, 0xbf59a7d5, v86, -v249
	v_fmac_f32_e32 v154, 0xbe3c28d5, v96
	v_dual_add_f32 v80, v244, v80 :: v_dual_add_f32 v81, v163, v81
	s_delay_alu instid0(VALU_DEP_1) | instskip(NEXT) | instid1(VALU_DEP_1)
	v_add_f32_e32 v80, v245, v80
	v_add_f32_e32 v80, v246, v80
	s_delay_alu instid0(VALU_DEP_1) | instskip(NEXT) | instid1(VALU_DEP_1)
	v_add_f32_e32 v80, v247, v80
	v_add_f32_e32 v80, v248, v80
	s_delay_alu instid0(VALU_DEP_1) | instskip(SKIP_1) | instid1(VALU_DEP_1)
	v_add_f32_e32 v80, v251, v80
	v_fmamk_f32 v98, v91, 0xbe8c1d8e, v98
	v_add_f32_e32 v75, v98, v75
	v_mul_f32_e32 v98, 0x3f65296c, v223
	scratch_store_b32 off, v98, off offset:100 ; 4-byte Folded Spill
	v_fmamk_f32 v98, v89, 0x3ee437d1, v98
	s_delay_alu instid0(VALU_DEP_1) | instskip(SKIP_1) | instid1(VALU_DEP_1)
	v_add_f32_e32 v122, v98, v75
	v_mul_f32_e32 v98, 0x3f6eb680, v226
	v_fmamk_f32 v75, v94, 0xbeb8f4ab, v98
	s_delay_alu instid0(VALU_DEP_1) | instskip(SKIP_3) | instid1(VALU_DEP_1)
	v_dual_add_f32 v75, v75, v74 :: v_dual_mul_f32 v74, 0x3eb8f4ab, v228
	v_fmac_f32_e32 v184, 0x3e3c28d5, v84
	scratch_store_b32 off, v74, off offset:96 ; 4-byte Folded Spill
	v_fmamk_f32 v74, v95, 0x3f6eb680, v74
	v_add_f32_e32 v74, v74, v122
	v_fma_f32 v122, 0x3ee437d1, v83, -v250
	s_delay_alu instid0(VALU_DEP_1) | instskip(SKIP_1) | instid1(VALU_DEP_1)
	v_add_f32_e32 v81, v122, v81
	v_fma_f32 v122, 0x3dbcf732, v85, -v252
	v_add_f32_e32 v81, v122, v81
	v_fma_f32 v122, 0xbf1a4643, v97, -v253
	s_delay_alu instid0(VALU_DEP_1) | instskip(SKIP_1) | instid1(VALU_DEP_1)
	v_add_f32_e32 v81, v122, v81
	v_fma_f32 v122, 0x3f6eb680, v93, -v254
	v_add_f32_e32 v81, v122, v81
	v_fma_f32 v122, 0xbf7ba420, v91, -v255
	s_delay_alu instid0(VALU_DEP_1)
	v_add_f32_e32 v81, v122, v81
	v_fma_f32 v122, 0x3f3d2fb0, v89, -v168
	v_fma_f32 v168, 0xbe8c1d8e, v95, -v170
	v_mov_b32_e32 v170, v172
	scratch_load_b32 v172, off, off offset:52 ; 4-byte Folded Reload
	v_dual_add_f32 v122, v122, v81 :: v_dual_add_f32 v81, v169, v80
	v_fma_f32 v169, 0xbe8c1d8e, v83, -v180
	s_delay_alu instid0(VALU_DEP_2) | instskip(SKIP_2) | instid1(VALU_DEP_2)
	v_add_f32_e32 v80, v168, v122
	v_fma_f32 v168, 0xbf1a4643, v86, -v179
	v_add_f32_e32 v122, v164, v171
	v_add_f32_e32 v168, v163, v168
	s_delay_alu instid0(VALU_DEP_2) | instskip(SKIP_4) | instid1(VALU_DEP_2)
	v_add_f32_e32 v122, v174, v122
	scratch_load_b32 v174, off, off offset:60 ; 4-byte Folded Reload
	v_add_f32_e32 v168, v169, v168
	v_fma_f32 v169, 0x3f6eb680, v85, -v173
	v_add_f32_e32 v122, v175, v122
	v_add_f32_e32 v168, v169, v168
	s_delay_alu instid0(VALU_DEP_1) | instskip(SKIP_2) | instid1(VALU_DEP_1)
	v_add_f32_e32 v106, v106, v168
	scratch_load_b32 v168, off, off offset:36 ; 4-byte Folded Reload
	v_add_f32_e32 v106, v107, v106
	v_add_f32_e32 v106, v108, v106
	v_fma_f32 v108, 0xbf7ba420, v89, -v109
	s_delay_alu instid0(VALU_DEP_1) | instskip(SKIP_1) | instid1(VALU_DEP_1)
	v_add_f32_e32 v106, v108, v106
	v_fma_f32 v108, 0x3ee437d1, v95, -v111
	v_add_f32_e32 v223, v108, v106
	v_add_f32_e32 v106, v164, v112
	v_fma_f32 v108, 0xbf59a7d5, v83, -v131
	s_delay_alu instid0(VALU_DEP_2) | instskip(SKIP_3) | instid1(VALU_DEP_1)
	v_add_f32_e32 v106, v113, v106
	v_dual_mov_b32 v113, v61 :: v_dual_mov_b32 v112, v60
	scratch_load_b32 v60, off, off offset:108 th:TH_LOAD_LU ; 4-byte Folded Reload
	v_add_f32_e32 v106, v114, v106
	v_add_f32_e32 v106, v115, v106
	v_dual_mov_b32 v114, v138 :: v_dual_mov_b32 v115, v139
	v_fmac_f32_e32 v190, 0xbeb8f4ab, v87
	v_fma_f32 v87, 0x3f3d2fb0, v86, -v188
	v_dual_add_f32 v122, v176, v122 :: v_dual_mov_b32 v139, v63
	v_fmac_f32_e32 v146, 0xbf65296c, v84
	s_delay_alu instid0(VALU_DEP_3) | instskip(NEXT) | instid1(VALU_DEP_3)
	v_dual_fmac_f32 v110, 0x3f65296c, v94 :: v_dual_add_f32 v87, v163, v87
	v_add_f32_e32 v122, v177, v122
	v_add_f32_e32 v106, v116, v106
	v_mov_b32_e32 v138, v62
	v_fma_f32 v84, 0x3ee437d1, v85, -v161
	s_delay_alu instid0(VALU_DEP_4) | instskip(NEXT) | instid1(VALU_DEP_4)
	v_add_f32_e32 v107, v178, v122
	v_add_f32_e32 v106, v117, v106
	v_dual_mov_b32 v117, v65 :: v_dual_mov_b32 v116, v64
	s_delay_alu instid0(VALU_DEP_3) | instskip(NEXT) | instid1(VALU_DEP_1)
	v_dual_add_f32 v107, v181, v107 :: v_dual_fmac_f32 v98, 0x3eb8f4ab, v94
	v_add_f32_e32 v224, v110, v107
	v_fma_f32 v107, 0xbe8c1d8e, v86, -v130
	v_dual_mov_b32 v111, v100 :: v_dual_fmac_f32 v142, 0xbf06c442, v88
	v_dual_add_f32 v106, v121, v106 :: v_dual_mov_b32 v121, v132
	s_delay_alu instid0(VALU_DEP_3) | instskip(SKIP_1) | instid1(VALU_DEP_2)
	v_add_f32_e32 v107, v163, v107
	v_fma_f32 v88, 0xbf7ba420, v95, -v149
	v_add_f32_e32 v107, v108, v107
	v_fma_f32 v108, 0x3f3d2fb0, v85, -v222
	s_delay_alu instid0(VALU_DEP_1) | instskip(SKIP_1) | instid1(VALU_DEP_1)
	v_dual_fmac_f32 v148, 0xbe3c28d5, v94 :: v_dual_add_f32 v107, v108, v107
	v_fma_f32 v108, 0x3ee437d1, v97, -v221
	v_add_f32_e32 v107, v108, v107
	v_fma_f32 v108, 0xbf7ba420, v93, -v220
	s_delay_alu instid0(VALU_DEP_1) | instskip(SKIP_1) | instid1(VALU_DEP_1)
	v_add_f32_e32 v107, v108, v107
	v_fma_f32 v108, 0x3dbcf732, v91, -v214
	v_add_f32_e32 v107, v108, v107
	v_fma_f32 v108, 0x3f6eb680, v89, -v211
	s_delay_alu instid0(VALU_DEP_1) | instskip(SKIP_3) | instid1(VALU_DEP_3)
	v_add_f32_e32 v107, v108, v107
	v_fma_f32 v108, 0xbf1a4643, v95, -v210
	v_add_f32_e32 v210, v209, v106
	v_add_f32_e32 v106, v164, v205
	;; [unrolled: 1-line block ×3, first 2 shown]
	v_fma_f32 v107, 0x3dbcf732, v86, -v212
	v_fma_f32 v108, 0xbf7ba420, v83, -v215
	s_delay_alu instid0(VALU_DEP_2) | instskip(NEXT) | instid1(VALU_DEP_1)
	v_dual_add_f32 v106, v206, v106 :: v_dual_add_f32 v107, v163, v107
	v_dual_add_f32 v106, v207, v106 :: v_dual_add_f32 v107, v108, v107
	v_fma_f32 v108, 0xbe8c1d8e, v85, -v219
	s_delay_alu instid0(VALU_DEP_2) | instskip(NEXT) | instid1(VALU_DEP_2)
	v_add_f32_e32 v106, v204, v106
	v_add_f32_e32 v107, v108, v107
	v_fma_f32 v108, 0x3f6eb680, v97, -v218
	s_delay_alu instid0(VALU_DEP_1) | instskip(SKIP_1) | instid1(VALU_DEP_1)
	v_dual_add_f32 v106, v203, v106 :: v_dual_add_f32 v107, v108, v107
	v_fma_f32 v108, 0x3ee437d1, v93, -v216
	v_dual_add_f32 v106, v202, v106 :: v_dual_add_f32 v107, v108, v107
	v_fma_f32 v108, 0xbf59a7d5, v91, -v213
	s_delay_alu instid0(VALU_DEP_2) | instskip(NEXT) | instid1(VALU_DEP_2)
	v_add_f32_e32 v106, v208, v106
	v_add_f32_e32 v107, v108, v107
	v_fma_f32 v108, 0xbf1a4643, v89, -v217
	s_delay_alu instid0(VALU_DEP_1) | instskip(SKIP_3) | instid1(VALU_DEP_3)
	v_add_f32_e32 v107, v108, v107
	v_fma_f32 v108, 0x3f3d2fb0, v95, -v201
	v_add_f32_e32 v201, v200, v106
	v_add_f32_e32 v106, v164, v185
	;; [unrolled: 1-line block ×3, first 2 shown]
	v_fma_f32 v107, 0x3ee437d1, v86, -v192
	v_fma_f32 v86, 0x3f6eb680, v86, -v199
	;; [unrolled: 1-line block ×3, first 2 shown]
	v_add_f32_e32 v106, v187, v106
	s_delay_alu instid0(VALU_DEP_4) | instskip(NEXT) | instid1(VALU_DEP_4)
	v_add_f32_e32 v107, v163, v107
	v_add_f32_e32 v86, v163, v86
	s_delay_alu instid0(VALU_DEP_3) | instskip(NEXT) | instid1(VALU_DEP_2)
	v_add_f32_e32 v106, v184, v106
	v_dual_add_f32 v107, v108, v107 :: v_dual_add_f32 v82, v82, v86
	v_fma_f32 v108, 0xbf7ba420, v85, -v198
	s_delay_alu instid0(VALU_DEP_3) | instskip(NEXT) | instid1(VALU_DEP_3)
	v_add_f32_e32 v106, v183, v106
	v_add_f32_e32 v82, v84, v82
	s_delay_alu instid0(VALU_DEP_3) | instskip(SKIP_1) | instid1(VALU_DEP_4)
	v_add_f32_e32 v107, v108, v107
	v_fma_f32 v108, 0xbe8c1d8e, v97, -v196
	v_add_f32_e32 v106, v182, v106
	v_fma_f32 v84, 0x3dbcf732, v97, -v160
	s_delay_alu instid0(VALU_DEP_3) | instskip(SKIP_1) | instid1(VALU_DEP_3)
	v_add_f32_e32 v107, v108, v107
	v_fma_f32 v108, 0x3f3d2fb0, v93, -v195
	v_add_f32_e32 v82, v84, v82
	v_fma_f32 v84, 0xbe8c1d8e, v93, -v158
	s_delay_alu instid0(VALU_DEP_3) | instskip(SKIP_1) | instid1(VALU_DEP_3)
	v_dual_add_f32 v106, v166, v106 :: v_dual_add_f32 v107, v108, v107
	v_fma_f32 v108, 0x3f6eb680, v91, -v193
	v_add_f32_e32 v82, v84, v82
	v_fma_f32 v84, 0xbf1a4643, v91, -v153
	s_delay_alu instid0(VALU_DEP_3) | instskip(SKIP_1) | instid1(VALU_DEP_3)
	v_dual_add_f32 v106, v186, v106 :: v_dual_add_f32 v107, v108, v107
	v_fma_f32 v108, 0x3dbcf732, v89, -v191
	v_add_f32_e32 v82, v84, v82
	v_fma_f32 v84, 0xbf59a7d5, v89, -v150
	s_delay_alu instid0(VALU_DEP_4) | instskip(NEXT) | instid1(VALU_DEP_4)
	v_dual_add_f32 v183, v189, v106 :: v_dual_add_f32 v106, v164, v156
	v_add_f32_e32 v107, v108, v107
	v_fma_f32 v108, 0xbf59a7d5, v95, -v197
	s_delay_alu instid0(VALU_DEP_4) | instskip(NEXT) | instid1(VALU_DEP_4)
	v_add_f32_e32 v84, v84, v82
	v_add_f32_e32 v106, v151, v106
	s_delay_alu instid0(VALU_DEP_3)
	v_add_f32_e32 v182, v108, v107
	v_fma_f32 v108, 0x3dbcf732, v83, -v159
	v_fma_f32 v83, 0xbf1a4643, v85, -v103
	;; [unrolled: 1-line block ×3, first 2 shown]
	v_add_f32_e32 v107, v164, v190
	v_add_f32_e32 v106, v152, v106
	;; [unrolled: 1-line block ×3, first 2 shown]
	v_dual_mov_b32 v129, v134 :: v_dual_mov_b32 v130, v135
	v_add_f32_e32 v84, v88, v84
	s_delay_alu instid0(VALU_DEP_3) | instskip(SKIP_1) | instid1(VALU_DEP_2)
	v_dual_add_f32 v106, v154, v106 :: v_dual_add_f32 v83, v83, v87
	v_add_f32_e32 v87, v147, v107
	v_dual_add_f32 v106, v155, v106 :: v_dual_add_f32 v83, v85, v83
	s_delay_alu instid0(VALU_DEP_1) | instskip(NEXT) | instid1(VALU_DEP_1)
	v_dual_add_f32 v85, v146, v87 :: v_dual_add_f32 v106, v157, v106
	v_dual_add_f32 v85, v145, v85 :: v_dual_add_f32 v106, v162, v106
	s_delay_alu instid0(VALU_DEP_1)
	v_dual_mov_b32 v122, v133 :: v_dual_add_f32 v85, v144, v85
	v_mov_b32_e32 v132, v67
	v_dual_mov_b32 v134, v102 :: v_dual_mov_b32 v131, v66
	v_mov_b32_e32 v133, v101
	s_wait_loadcnt 0x1
	v_or_b32_e32 v169, 0x14c, v168
	s_wait_loadcnt 0x0
	v_fma_f32 v86, 0xbf59a7d5, v93, -v60
	scratch_load_b32 v60, off, off offset:104 th:TH_LOAD_LU ; 4-byte Folded Reload
	v_add_f32_e32 v83, v86, v83
	s_wait_loadcnt 0x0
	v_fma_f32 v86, 0xbe8c1d8e, v91, -v60
	scratch_load_b32 v60, off, off offset:100 th:TH_LOAD_LU ; 4-byte Folded Reload
	v_add_f32_e32 v83, v86, v83
	s_wait_loadcnt 0x0
	v_fma_f32 v86, 0x3ee437d1, v89, -v60
	s_clause 0x2
	scratch_load_b32 v60, off, off offset:96 th:TH_LOAD_LU
	scratch_load_b32 v173, off, off offset:56
	scratch_load_b32 v171, off, off offset:48
	v_dual_add_f32 v86, v86, v83 :: v_dual_add_f32 v83, v143, v85
	s_delay_alu instid0(VALU_DEP_1)
	v_dual_add_f32 v87, v142, v83 :: v_dual_mov_b32 v110, v99
	v_add_f32_e32 v83, v98, v106
	s_wait_loadcnt 0x2
	v_fma_f32 v85, 0x3f6eb680, v95, -v60
	s_clause 0x1
	scratch_load_b32 v60, off, off offset:88 th:TH_LOAD_LU
	scratch_load_b32 v61, off, off offset:92 th:TH_LOAD_LU
	v_dual_add_f32 v82, v85, v86 :: v_dual_add_f32 v85, v148, v87
	s_wait_loadcnt 0x0
	v_lshl_add_u32 v89, v61, 3, v60
	scratch_load_b64 v[60:61], off, off offset:64 th:TH_LOAD_LU ; 8-byte Folded Reload
	s_wait_loadcnt 0x0
	ds_store_2addr_b64 v89, v[60:61], v[76:77] offset1:1
	ds_store_2addr_b64 v89, v[74:75], v[72:73] offset0:2 offset1:3
	ds_store_2addr_b64 v89, v[70:71], v[68:69] offset0:4 offset1:5
	scratch_load_b64 v[60:61], off, off offset:80 th:TH_LOAD_LU ; 8-byte Folded Reload
	s_wait_loadcnt 0x0
	ds_store_2addr_b64 v89, v[136:137], v[60:61] offset0:6 offset1:7
	v_dual_mov_b32 v136, v126 :: v_dual_mov_b32 v135, v125
	v_mov_b32_e32 v125, v140
	scratch_load_b32 v137, off, off offset:40 ; 4-byte Folded Reload
	v_mov_b32_e32 v126, v141
	s_clause 0x1
	scratch_load_b32 v140, off, off offset:44
	scratch_load_b64 v[60:61], off, off offset:72 th:TH_LOAD_LU
	s_wait_loadcnt 0x0
	ds_store_2addr_b64 v89, v[60:61], v[78:79] offset0:8 offset1:9
	ds_store_2addr_b64 v89, v[80:81], v[223:224] offset0:10 offset1:11
	;; [unrolled: 1-line block ×4, first 2 shown]
	ds_store_b64 v89, v[84:85] offset:128
.LBB0_13:
	s_wait_alu 0xfffe
	s_or_b32 exec_lo, exec_lo, s0
	global_wb scope:SCOPE_SE
	s_wait_storecnt_dscnt 0x0
	s_barrier_signal -1
	s_barrier_wait -1
	global_inv scope:SCOPE_SE
	ds_load_2addr_b64 v[61:64], v167 offset0:102 offset1:119
	ds_load_2addr_b64 v[65:68], v167 offset0:238 offset1:255
	;; [unrolled: 1-line block ×3, first 2 shown]
	ds_load_2addr_b64 v[73:76], v167 offset1:17
	ds_load_2addr_b64 v[77:80], v167 offset0:34 offset1:51
	v_add_nc_u32_e32 v60, 0x800, v167
	s_mov_b32 s2, 0x16f26017
	s_mov_b32 s3, 0x3f66f260
	s_wait_dscnt 0x4
	v_mul_f32_e32 v103, v1, v64
	ds_load_2addr_b64 v[81:84], v167 offset0:170 offset1:187
	ds_load_2addr_b64 v[85:88], v167 offset0:68 offset1:85
	;; [unrolled: 1-line block ×3, first 2 shown]
	ds_load_b64 v[101:102], v167 offset:2720
	ds_load_2addr_b64 v[93:96], v60 offset0:16 offset1:33
	ds_load_2addr_b64 v[97:100], v60 offset0:50 offset1:67
	s_wait_dscnt 0x9
	v_dual_mul_f32 v106, v1, v63 :: v_dual_mul_f32 v107, v3, v66
	s_wait_dscnt 0x8
	v_dual_mul_f32 v108, v3, v65 :: v_dual_mul_f32 v109, v1, v70
	v_mul_f32_e32 v1, v1, v69
	v_fmac_f32_e32 v103, v0, v63
	v_fma_f32 v63, v0, v64, -v106
	v_fmac_f32_e32 v107, v2, v65
	v_fma_f32 v64, v2, v66, -v108
	v_mul_f32_e32 v65, v3, v68
	v_fmac_f32_e32 v109, v0, v69
	v_fma_f32 v66, v0, v70, -v1
	v_mul_f32_e32 v69, v21, v72
	v_mul_f32_e32 v0, v21, v71
	;; [unrolled: 1-line block ×3, first 2 shown]
	v_fmac_f32_e32 v65, v2, v67
	global_wb scope:SCOPE_SE
	s_wait_dscnt 0x0
	v_fmac_f32_e32 v69, v20, v71
	v_mul_f32_e32 v67, v23, v94
	v_mul_f32_e32 v1, v23, v93
	v_fma_f32 v20, v20, v72, -v0
	v_mul_f32_e32 v0, v17, v81
	v_mul_f32_e32 v23, v17, v82
	v_fmac_f32_e32 v67, v22, v93
	v_fma_f32 v17, v22, v94, -v1
	v_mul_f32_e32 v22, v19, v96
	v_mul_f32_e32 v1, v19, v95
	v_fma_f32 v19, v16, v82, -v0
	v_mul_f32_e32 v0, v13, v83
	s_barrier_signal -1
	v_fmac_f32_e32 v22, v18, v95
	v_fma_f32 v70, v18, v96, -v1
	v_mul_f32_e32 v1, v15, v97
	v_fma_f32 v72, v12, v84, -v0
	v_mul_f32_e32 v0, v9, v89
	v_fma_f32 v21, v2, v68, -v3
	v_mul_f32_e32 v68, v13, v84
	v_fma_f32 v82, v14, v98, -v1
	v_mul_f32_e32 v1, v11, v99
	v_dual_add_f32 v2, v73, v103 :: v_dual_fmac_f32 v23, v16, v81
	s_delay_alu instid0(VALU_DEP_4)
	v_dual_fmac_f32 v68, v12, v83 :: v_dual_mul_f32 v81, v9, v90
	v_add_f32_e32 v9, v66, v21
	v_mul_f32_e32 v83, v11, v100
	v_fma_f32 v84, v8, v90, -v0
	v_mul_f32_e32 v0, v5, v91
	v_fma_f32 v90, v10, v100, -v1
	v_sub_f32_e32 v13, v20, v17
	v_dual_fmac_f32 v83, v10, v99 :: v_dual_add_f32 v10, v76, v66
	v_fmac_f32_e32 v76, -0.5, v9
	v_fmac_f32_e32 v81, v8, v89
	v_mul_f32_e32 v89, v5, v92
	v_sub_f32_e32 v3, v63, v64
	v_add_f32_e32 v8, v75, v109
	v_dual_mul_f32 v1, v7, v101 :: v_dual_sub_f32 v16, v69, v67
	s_delay_alu instid0(VALU_DEP_4)
	v_fmac_f32_e32 v89, v4, v91
	v_fma_f32 v91, v4, v92, -v0
	v_add_f32_e32 v0, v103, v107
	v_dual_add_f32 v12, v77, v69 :: v_dual_mul_f32 v93, v7, v102
	v_fma_f32 v92, v6, v102, -v1
	v_add_f32_e32 v2, v2, v107
	s_delay_alu instid0(VALU_DEP_4) | instskip(NEXT) | instid1(VALU_DEP_4)
	v_fma_f32 v0, -0.5, v0, v73
	v_dual_add_f32 v12, v12, v67 :: v_dual_mul_f32 v71, v15, v98
	v_dual_fmac_f32 v93, v6, v101 :: v_dual_add_f32 v18, v79, v23
	s_delay_alu instid0(VALU_DEP_3) | instskip(NEXT) | instid1(VALU_DEP_3)
	v_fmamk_f32 v4, v3, 0xbf5db3d7, v0
	v_dual_fmac_f32 v0, 0x3f5db3d7, v3 :: v_dual_fmac_f32 v71, v14, v97
	v_sub_f32_e32 v11, v109, v65
	v_add_f32_e32 v1, v63, v64
	v_add_f32_e32 v5, v74, v63
	v_dual_add_f32 v15, v78, v20 :: v_dual_sub_f32 v6, v103, v107
	s_delay_alu instid0(VALU_DEP_4) | instskip(SKIP_4) | instid1(VALU_DEP_4)
	v_fmamk_f32 v9, v11, 0x3f5db3d7, v76
	v_dual_fmac_f32 v76, 0xbf5db3d7, v11 :: v_dual_add_f32 v11, v20, v17
	v_dual_add_f32 v20, v19, v70 :: v_dual_add_f32 v7, v109, v65
	v_fma_f32 v1, -0.5, v1, v74
	v_dual_add_f32 v3, v5, v64 :: v_dual_sub_f32 v64, v72, v82
	v_fma_f32 v11, -0.5, v11, v78
	s_delay_alu instid0(VALU_DEP_4) | instskip(SKIP_3) | instid1(VALU_DEP_3)
	v_fma_f32 v75, -0.5, v7, v75
	v_sub_f32_e32 v7, v66, v21
	v_fmamk_f32 v5, v6, 0x3f5db3d7, v1
	v_dual_fmac_f32 v1, 0xbf5db3d7, v6 :: v_dual_add_f32 v6, v8, v65
	v_dual_add_f32 v73, v62, v91 :: v_dual_fmamk_f32 v8, v7, 0xbf5db3d7, v75
	v_fmac_f32_e32 v75, 0x3f5db3d7, v7
	v_dual_add_f32 v7, v10, v21 :: v_dual_add_f32 v10, v69, v67
	v_add_f32_e32 v69, v88, v84
	v_dual_sub_f32 v66, v68, v71 :: v_dual_add_f32 v67, v87, v81
	s_barrier_wait -1
	s_delay_alu instid0(VALU_DEP_3)
	v_fma_f32 v10, -0.5, v10, v77
	global_inv scope:SCOPE_SE
	v_fmamk_f32 v14, v13, 0xbf5db3d7, v10
	v_fmac_f32_e32 v10, 0x3f5db3d7, v13
	v_add_f32_e32 v13, v15, v17
	v_dual_add_f32 v17, v23, v22 :: v_dual_sub_f32 v74, v89, v93
	v_add_f32_e32 v21, v68, v71
	v_fmamk_f32 v15, v16, 0x3f5db3d7, v11
	v_fmac_f32_e32 v11, 0xbf5db3d7, v16
	s_delay_alu instid0(VALU_DEP_4)
	v_fma_f32 v79, -0.5, v17, v79
	v_sub_f32_e32 v17, v19, v70
	v_dual_add_f32 v19, v80, v19 :: v_dual_fmac_f32 v80, -0.5, v20
	v_sub_f32_e32 v20, v23, v22
	v_add_f32_e32 v23, v72, v82
	v_add_f32_e32 v16, v18, v22
	v_fmamk_f32 v18, v17, 0xbf5db3d7, v79
	v_fmac_f32_e32 v79, 0x3f5db3d7, v17
	v_add_f32_e32 v65, v86, v72
	v_sub_f32_e32 v72, v91, v92
	v_add_f32_e32 v17, v19, v70
	v_fmamk_f32 v19, v20, 0x3f5db3d7, v80
	v_fmac_f32_e32 v80, 0xbf5db3d7, v20
	v_fma_f32 v20, -0.5, v21, v85
	v_fma_f32 v21, -0.5, v23, v86
	v_add_f32_e32 v23, v65, v82
	v_add_f32_e32 v65, v81, v83
	s_delay_alu instid0(VALU_DEP_4)
	v_dual_add_f32 v22, v85, v68 :: v_dual_fmamk_f32 v63, v64, 0xbf5db3d7, v20
	v_fmac_f32_e32 v20, 0x3f5db3d7, v64
	v_fmamk_f32 v64, v66, 0x3f5db3d7, v21
	v_fmac_f32_e32 v21, 0xbf5db3d7, v66
	v_add_f32_e32 v66, v84, v90
	v_fma_f32 v87, -0.5, v65, v87
	v_sub_f32_e32 v68, v84, v90
	v_sub_f32_e32 v70, v81, v83
	s_delay_alu instid0(VALU_DEP_4) | instskip(NEXT) | instid1(VALU_DEP_3)
	v_dual_add_f32 v65, v67, v83 :: v_dual_fmac_f32 v88, -0.5, v66
	v_dual_add_f32 v66, v69, v90 :: v_dual_fmamk_f32 v67, v68, 0xbf5db3d7, v87
	v_fmac_f32_e32 v87, 0x3f5db3d7, v68
	s_delay_alu instid0(VALU_DEP_3) | instskip(SKIP_3) | instid1(VALU_DEP_4)
	v_dual_add_f32 v69, v89, v93 :: v_dual_fmamk_f32 v68, v70, 0x3f5db3d7, v88
	v_fmac_f32_e32 v88, 0xbf5db3d7, v70
	v_add_f32_e32 v70, v91, v92
	v_dual_add_f32 v22, v22, v71 :: v_dual_add_f32 v71, v61, v89
	v_fma_f32 v61, -0.5, v69, v61
	ds_store_2addr_b64 v167, v[2:3], v[4:5] offset1:17
	ds_store_2addr_b64 v167, v[0:1], v[6:7] offset0:34 offset1:51
	v_fmac_f32_e32 v62, -0.5, v70
	v_dual_add_f32 v69, v71, v93 :: v_dual_add_nc_u32 v0, 0x400, v140
	v_fmamk_f32 v71, v72, 0xbf5db3d7, v61
	v_fmac_f32_e32 v61, 0x3f5db3d7, v72
	v_add_f32_e32 v70, v73, v92
	v_fmamk_f32 v72, v74, 0x3f5db3d7, v62
	v_fmac_f32_e32 v62, 0xbf5db3d7, v74
	ds_store_2addr_b64 v167, v[8:9], v[75:76] offset0:68 offset1:85
	ds_store_2addr_b64 v170, v[12:13], v[14:15] offset0:102 offset1:119
	;; [unrolled: 1-line block ×5, first 2 shown]
	v_add_nc_u32_e32 v0, 0x800, v137
	ds_store_b64 v170, v[10:11] offset:1088
	ds_store_b64 v171, v[79:80] offset:1496
	;; [unrolled: 1-line block ×4, first 2 shown]
	ds_store_2addr_b64 v0, v[69:70], v[71:72] offset0:50 offset1:67
	ds_store_b64 v137, v[61:62] offset:2720
	global_wb scope:SCOPE_SE
	s_wait_dscnt 0x0
	s_barrier_signal -1
	s_barrier_wait -1
	global_inv scope:SCOPE_SE
	ds_load_2addr_b64 v[0:3], v167 offset0:34 offset1:51
	ds_load_2addr_b64 v[4:7], v167 offset0:102 offset1:119
	;; [unrolled: 1-line block ×4, first 2 shown]
	ds_load_2addr_b64 v[16:19], v167 offset1:17
	ds_load_2addr_b64 v[20:23], v167 offset0:238 offset1:255
	ds_load_2addr_b64 v[61:64], v60 offset0:50 offset1:67
	ds_load_2addr_b64 v[65:68], v167 offset0:68 offset1:85
	ds_load_2addr_b64 v[69:72], v167 offset0:170 offset1:187
	ds_load_2addr_b64 v[73:76], v60 offset0:16 offset1:33
	ds_load_b64 v[77:78], v167 offset:2720
	s_wait_dscnt 0xa
	v_mul_f32_e32 v79, v53, v3
	s_wait_dscnt 0x8
	v_mul_f32_e32 v80, v41, v11
	v_mul_f32_e32 v41, v41, v10
	s_delay_alu instid0(VALU_DEP_3) | instskip(SKIP_1) | instid1(VALU_DEP_4)
	v_fmac_f32_e32 v79, v52, v2
	v_dual_mul_f32 v2, v53, v2 :: v_dual_mul_f32 v53, v55, v5
	v_dual_mul_f32 v55, v55, v4 :: v_dual_fmac_f32 v80, v40, v10
	s_wait_dscnt 0x7
	v_mul_f32_e32 v10, v43, v12
	s_delay_alu instid0(VALU_DEP_3) | instskip(NEXT) | instid1(VALU_DEP_3)
	v_fma_f32 v2, v52, v3, -v2
	v_fma_f32 v3, v54, v5, -v55
	s_delay_alu instid0(VALU_DEP_3) | instskip(SKIP_1) | instid1(VALU_DEP_1)
	v_fma_f32 v10, v42, v13, -v10
	v_mul_f32_e32 v5, v43, v13
	v_fmac_f32_e32 v5, v42, v12
	v_fmac_f32_e32 v53, v54, v4
	v_fma_f32 v4, v40, v11, -v41
	s_wait_dscnt 0x4
	v_mul_f32_e32 v40, v27, v62
	v_mul_f32_e32 v13, v27, v61
	s_delay_alu instid0(VALU_DEP_2) | instskip(SKIP_2) | instid1(VALU_DEP_4)
	v_dual_mul_f32 v27, v47, v15 :: v_dual_fmac_f32 v40, v26, v61
	v_mul_f32_e32 v11, v25, v23
	v_mul_f32_e32 v25, v25, v22
	v_fma_f32 v13, v26, v62, -v13
	s_wait_dscnt 0x2
	v_mul_f32_e32 v26, v45, v70
	v_fmac_f32_e32 v27, v46, v14
	v_fmac_f32_e32 v11, v24, v22
	v_fma_f32 v12, v24, v23, -v25
	v_mul_f32_e32 v24, v59, v7
	v_dual_mul_f32 v25, v59, v6 :: v_dual_fmac_f32 v26, v44, v69
	v_mul_f32_e32 v22, v57, v66
	s_delay_alu instid0(VALU_DEP_3) | instskip(NEXT) | instid1(VALU_DEP_3)
	v_fmac_f32_e32 v24, v58, v6
	v_fma_f32 v25, v58, v7, -v25
	v_dual_mul_f32 v6, v45, v69 :: v_dual_mul_f32 v7, v47, v14
	v_dual_mul_f32 v14, v49, v67 :: v_dual_mul_f32 v45, v51, v9
	v_fmac_f32_e32 v22, v56, v65
	s_delay_alu instid0(VALU_DEP_3) | instskip(NEXT) | instid1(VALU_DEP_4)
	v_fma_f32 v42, v44, v70, -v6
	v_fma_f32 v43, v46, v15, -v7
	s_wait_dscnt 0x1
	v_dual_mul_f32 v6, v29, v73 :: v_dual_mul_f32 v7, v31, v63
	v_fma_f32 v44, v48, v68, -v14
	v_add_f32_e32 v14, v4, v10
	v_dual_sub_f32 v4, v10, v4 :: v_dual_mul_f32 v41, v29, v74
	v_mul_f32_e32 v29, v31, v64
	s_delay_alu instid0(VALU_DEP_2) | instskip(SKIP_1) | instid1(VALU_DEP_3)
	v_dual_mul_f32 v46, v37, v72 :: v_dual_fmac_f32 v41, v28, v73
	v_fma_f32 v28, v28, v74, -v6
	v_fmac_f32_e32 v29, v30, v63
	v_fma_f32 v30, v30, v64, -v7
	v_dual_mul_f32 v6, v51, v8 :: v_dual_mul_f32 v7, v37, v71
	v_dual_mul_f32 v37, v39, v21 :: v_dual_fmac_f32 v46, v36, v71
	s_delay_alu instid0(VALU_DEP_2) | instskip(NEXT) | instid1(VALU_DEP_3)
	v_fma_f32 v47, v50, v9, -v6
	v_fma_f32 v36, v36, v72, -v7
	v_mul_f32_e32 v6, v39, v20
	v_mul_f32_e32 v39, v33, v76
	;; [unrolled: 1-line block ×3, first 2 shown]
	s_wait_dscnt 0x0
	v_mul_f32_e32 v33, v35, v78
	v_fmac_f32_e32 v37, v38, v20
	v_fmac_f32_e32 v39, v32, v75
	v_fma_f32 v32, v32, v76, -v7
	v_add_f32_e32 v7, v2, v13
	v_dual_sub_f32 v2, v2, v13 :: v_dual_add_f32 v13, v3, v12
	v_sub_f32_e32 v3, v3, v12
	v_dual_mul_f32 v31, v49, v68 :: v_dual_add_f32 v12, v80, v5
	v_add_f32_e32 v9, v53, v11
	s_delay_alu instid0(VALU_DEP_4) | instskip(NEXT) | instid1(VALU_DEP_4)
	v_add_f32_e32 v15, v13, v7
	v_sub_f32_e32 v49, v4, v3
	v_dual_fmac_f32 v45, v50, v8 :: v_dual_mul_f32 v8, v35, v77
	v_fma_f32 v35, v38, v21, -v6
	v_dual_add_f32 v6, v79, v40 :: v_dual_mul_f32 v23, v57, v65
	v_fmac_f32_e32 v33, v34, v77
	s_delay_alu instid0(VALU_DEP_4) | instskip(SKIP_1) | instid1(VALU_DEP_4)
	v_fma_f32 v34, v34, v78, -v8
	v_sub_f32_e32 v8, v79, v40
	v_add_f32_e32 v10, v9, v6
	v_sub_f32_e32 v20, v9, v6
	v_dual_sub_f32 v21, v13, v7 :: v_dual_sub_f32 v6, v6, v12
	v_sub_f32_e32 v7, v7, v14
	v_sub_f32_e32 v9, v12, v9
	v_dual_sub_f32 v13, v14, v13 :: v_dual_add_f32 v40, v4, v3
	v_add_f32_e32 v10, v12, v10
	v_add_f32_e32 v12, v14, v15
	v_dual_sub_f32 v14, v3, v2 :: v_dual_fmac_f32 v31, v48, v67
	v_mul_f32_e32 v6, 0x3f4a47b2, v6
	v_dual_sub_f32 v4, v2, v4 :: v_dual_add_f32 v15, v40, v2
	s_delay_alu instid0(VALU_DEP_4)
	v_dual_add_f32 v2, v16, v10 :: v_dual_add_f32 v3, v17, v12
	v_mul_f32_e32 v7, 0x3f4a47b2, v7
	v_mul_f32_e32 v16, 0x3d64c772, v9
	;; [unrolled: 1-line block ×5, first 2 shown]
	v_fmamk_f32 v10, v10, 0xbf955555, v2
	v_fmamk_f32 v12, v12, 0xbf955555, v3
	;; [unrolled: 1-line block ×4, first 2 shown]
	v_fma_f32 v16, 0x3f3bfb3b, v20, -v16
	v_fma_f32 v17, 0x3f3bfb3b, v21, -v17
	;; [unrolled: 1-line block ×4, first 2 shown]
	v_fmamk_f32 v21, v4, 0xbeae86e6, v40
	v_fma_f32 v14, 0xbf5ff5aa, v14, -v40
	v_fma_f32 v40, 0x3eae86e6, v4, -v49
	v_add_f32_e32 v49, v13, v12
	v_dual_add_f32 v13, v16, v10 :: v_dual_add_f32 v16, v17, v12
	s_delay_alu instid0(VALU_DEP_3) | instskip(SKIP_3) | instid1(VALU_DEP_4)
	v_dual_add_f32 v17, v6, v10 :: v_dual_fmac_f32 v40, 0xbee1c552, v15
	v_sub_f32_e32 v11, v53, v11
	v_dual_fmac_f32 v14, 0xbee1c552, v15 :: v_dual_sub_f32 v5, v5, v80
	v_fma_f32 v23, v56, v66, -v23
	v_dual_add_f32 v6, v40, v17 :: v_dual_fmac_f32 v21, 0xbee1c552, v15
	v_add_f32_e32 v50, v7, v12
	s_delay_alu instid0(VALU_DEP_4) | instskip(SKIP_3) | instid1(VALU_DEP_4)
	v_add_f32_e32 v38, v5, v11
	v_dual_sub_f32 v48, v5, v11 :: v_dual_sub_f32 v5, v8, v5
	v_sub_f32_e32 v11, v11, v8
	v_sub_f32_e32 v12, v17, v40
	v_add_f32_e32 v8, v38, v8
	s_delay_alu instid0(VALU_DEP_4) | instskip(NEXT) | instid1(VALU_DEP_4)
	v_dual_mul_f32 v38, 0x3f08b237, v48 :: v_dual_add_f32 v17, v23, v30
	v_mul_f32_e32 v48, 0xbf5ff5aa, v11
	s_delay_alu instid0(VALU_DEP_2) | instskip(SKIP_1) | instid1(VALU_DEP_3)
	v_fmamk_f32 v20, v5, 0xbeae86e6, v38
	v_fma_f32 v11, 0xbf5ff5aa, v11, -v38
	v_fma_f32 v38, 0x3eae86e6, v5, -v48
	v_add_f32_e32 v48, v9, v10
	v_add_f32_e32 v10, v14, v13
	v_fmac_f32_e32 v20, 0xbee1c552, v8
	v_fmac_f32_e32 v11, 0xbee1c552, v8
	;; [unrolled: 1-line block ×3, first 2 shown]
	v_add_f32_e32 v4, v21, v48
	v_sub_f32_e32 v8, v13, v14
	v_sub_f32_e32 v5, v49, v20
	v_add_f32_e32 v9, v11, v16
	v_sub_f32_e32 v11, v16, v11
	v_add_f32_e32 v15, v20, v49
	v_add_f32_e32 v16, v22, v29
	v_sub_f32_e32 v20, v22, v29
	v_add_f32_e32 v22, v24, v41
	v_dual_sub_f32 v14, v48, v21 :: v_dual_sub_f32 v21, v23, v30
	v_dual_add_f32 v23, v25, v28 :: v_dual_sub_f32 v24, v24, v41
	v_dual_sub_f32 v25, v25, v28 :: v_dual_add_f32 v28, v26, v27
	v_sub_f32_e32 v26, v27, v26
	v_add_f32_e32 v30, v22, v16
	v_add_f32_e32 v29, v42, v43
	v_dual_sub_f32 v27, v43, v42 :: v_dual_sub_f32 v40, v22, v16
	v_sub_f32_e32 v42, v16, v28
	v_sub_f32_e32 v22, v28, v22
	v_add_f32_e32 v16, v26, v24
	v_sub_f32_e32 v48, v26, v24
	v_add_f32_e32 v28, v28, v30
	v_sub_f32_e32 v7, v50, v38
	v_sub_f32_e32 v26, v20, v26
	;; [unrolled: 1-line block ×3, first 2 shown]
	v_add_f32_e32 v20, v16, v20
	v_add_f32_e32 v16, v18, v28
	v_mul_f32_e32 v18, 0x3f4a47b2, v42
	v_mul_f32_e32 v30, 0x3d64c772, v22
	v_dual_mul_f32 v42, 0x3f08b237, v48 :: v_dual_add_f32 v13, v38, v50
	v_mul_f32_e32 v48, 0xbf5ff5aa, v24
	s_delay_alu instid0(VALU_DEP_4) | instskip(NEXT) | instid1(VALU_DEP_4)
	v_fmamk_f32 v22, v22, 0x3d64c772, v18
	v_fma_f32 v30, 0x3f3bfb3b, v40, -v30
	v_fma_f32 v18, 0xbf3bfb3b, v40, -v18
	v_fmamk_f32 v40, v26, 0xbeae86e6, v42
	v_add_f32_e32 v38, v23, v17
	v_dual_fmamk_f32 v28, v28, 0xbf955555, v16 :: v_dual_sub_f32 v41, v23, v17
	v_fma_f32 v42, 0xbf5ff5aa, v24, -v42
	s_delay_alu instid0(VALU_DEP_4) | instskip(SKIP_4) | instid1(VALU_DEP_4)
	v_dual_fmac_f32 v40, 0xbee1c552, v20 :: v_dual_sub_f32 v43, v17, v29
	v_add_f32_e32 v17, v27, v25
	v_sub_f32_e32 v49, v27, v25
	v_sub_f32_e32 v27, v21, v27
	v_dual_sub_f32 v25, v25, v21 :: v_dual_fmac_f32 v42, 0xbee1c552, v20
	v_add_f32_e32 v21, v17, v21
	v_sub_f32_e32 v23, v29, v23
	v_add_f32_e32 v29, v29, v38
	s_delay_alu instid0(VALU_DEP_1) | instskip(SKIP_3) | instid1(VALU_DEP_2)
	v_add_f32_e32 v17, v19, v29
	v_mul_f32_e32 v19, 0x3f4a47b2, v43
	v_mul_f32_e32 v43, 0x3f08b237, v49
	;; [unrolled: 1-line block ×3, first 2 shown]
	v_fma_f32 v24, 0xbf5ff5aa, v25, -v43
	v_dual_add_f32 v25, v30, v28 :: v_dual_add_f32 v30, v31, v33
	v_sub_f32_e32 v31, v31, v33
	s_delay_alu instid0(VALU_DEP_3)
	v_dual_sub_f32 v33, v44, v34 :: v_dual_fmac_f32 v24, 0xbee1c552, v21
	v_dual_mul_f32 v38, 0x3d64c772, v23 :: v_dual_fmamk_f32 v23, v23, 0x3d64c772, v19
	v_fma_f32 v19, 0xbf3bfb3b, v41, -v19
	ds_store_2addr_b64 v167, v[6:7], v[8:9] offset0:102 offset1:153
	ds_store_2addr_b64 v167, v[10:11], v[12:13] offset0:204 offset1:255
	ds_store_b64 v167, v[14:15] offset:2448
	v_add_nc_u32_e32 v6, 0x400, v174
	v_fma_f32 v38, 0x3f3bfb3b, v41, -v38
	v_fmamk_f32 v41, v27, 0xbeae86e6, v43
	v_fma_f32 v43, 0x3eae86e6, v26, -v48
	v_add_f32_e32 v48, v22, v28
	v_sub_f32_e32 v22, v25, v24
	v_add_f32_e32 v24, v24, v25
	v_fma_f32 v26, 0x3eae86e6, v27, -v49
	v_dual_add_f32 v28, v18, v28 :: v_dual_fmac_f32 v41, 0xbee1c552, v21
	s_delay_alu instid0(VALU_DEP_2) | instskip(NEXT) | instid1(VALU_DEP_2)
	v_dual_fmac_f32 v43, 0xbee1c552, v20 :: v_dual_fmac_f32 v26, 0xbee1c552, v21
	v_add_f32_e32 v18, v41, v48
	s_delay_alu instid0(VALU_DEP_2) | instskip(SKIP_4) | instid1(VALU_DEP_3)
	v_add_f32_e32 v20, v26, v28
	v_sub_f32_e32 v26, v28, v26
	v_dual_sub_f32 v28, v48, v41 :: v_dual_fmamk_f32 v29, v29, 0xbf955555, v17
	v_add_f32_e32 v41, v46, v37
	v_sub_f32_e32 v37, v37, v46
	v_dual_add_f32 v27, v38, v29 :: v_dual_add_f32 v38, v44, v34
	v_add_f32_e32 v34, v45, v39
	v_sub_f32_e32 v39, v45, v39
	s_delay_alu instid0(VALU_DEP_2) | instskip(NEXT) | instid1(VALU_DEP_2)
	v_dual_add_f32 v49, v23, v29 :: v_dual_sub_f32 v44, v34, v30
	v_add_f32_e32 v46, v37, v39
	v_add_f32_e32 v23, v42, v27
	v_dual_sub_f32 v25, v27, v42 :: v_dual_add_f32 v42, v36, v35
	v_add_f32_e32 v29, v19, v29
	v_dual_sub_f32 v35, v35, v36 :: v_dual_add_f32 v36, v34, v30
	v_dual_sub_f32 v19, v49, v40 :: v_dual_sub_f32 v30, v30, v41
	s_delay_alu instid0(VALU_DEP_3) | instskip(NEXT) | instid1(VALU_DEP_3)
	v_dual_add_f32 v27, v43, v29 :: v_dual_sub_f32 v34, v41, v34
	v_add_f32_e32 v36, v41, v36
	v_sub_f32_e32 v21, v29, v43
	v_dual_add_f32 v29, v40, v49 :: v_dual_add_f32 v40, v47, v32
	v_mul_f32_e32 v30, 0x3f4a47b2, v30
	s_delay_alu instid0(VALU_DEP_4) | instskip(NEXT) | instid1(VALU_DEP_3)
	v_add_f32_e32 v0, v0, v36
	v_dual_sub_f32 v32, v47, v32 :: v_dual_add_f32 v43, v40, v38
	s_delay_alu instid0(VALU_DEP_1) | instskip(NEXT) | instid1(VALU_DEP_1)
	v_dual_fmamk_f32 v36, v36, 0xbf955555, v0 :: v_dual_add_f32 v41, v42, v43
	v_add_f32_e32 v1, v1, v41
	s_delay_alu instid0(VALU_DEP_1)
	v_fmamk_f32 v41, v41, 0xbf955555, v1
	v_sub_f32_e32 v45, v40, v38
	v_sub_f32_e32 v38, v38, v42
	;; [unrolled: 1-line block ×3, first 2 shown]
	v_mul_f32_e32 v42, 0x3d64c772, v34
	v_fmamk_f32 v34, v34, 0x3d64c772, v30
	v_sub_f32_e32 v48, v37, v39
	v_dual_sub_f32 v39, v39, v31 :: v_dual_mul_f32 v38, 0x3f4a47b2, v38
	v_fma_f32 v30, 0xbf3bfb3b, v44, -v30
	v_sub_f32_e32 v37, v31, v37
	s_delay_alu instid0(VALU_DEP_4) | instskip(NEXT) | instid1(VALU_DEP_4)
	v_dual_add_f32 v31, v46, v31 :: v_dual_mul_f32 v46, 0x3f08b237, v48
	v_dual_mul_f32 v43, 0x3d64c772, v40 :: v_dual_fmamk_f32 v40, v40, 0x3d64c772, v38
	v_add_f32_e32 v47, v35, v32
	v_fma_f32 v42, 0x3f3bfb3b, v44, -v42
	s_delay_alu instid0(VALU_DEP_4) | instskip(SKIP_2) | instid1(VALU_DEP_3)
	v_dual_fmamk_f32 v44, v37, 0xbeae86e6, v46 :: v_dual_sub_f32 v49, v35, v32
	v_dual_sub_f32 v35, v33, v35 :: v_dual_sub_f32 v32, v32, v33
	v_add_f32_e32 v50, v40, v41
	v_dual_add_f32 v33, v47, v33 :: v_dual_fmac_f32 v44, 0xbee1c552, v31
	s_delay_alu instid0(VALU_DEP_4) | instskip(NEXT) | instid1(VALU_DEP_4)
	v_mul_f32_e32 v47, 0x3f08b237, v49
	v_dual_mul_f32 v48, 0xbf5ff5aa, v39 :: v_dual_mul_f32 v49, 0xbf5ff5aa, v32
	v_fma_f32 v43, 0x3f3bfb3b, v45, -v43
	v_fma_f32 v39, 0xbf5ff5aa, v39, -v46
	s_delay_alu instid0(VALU_DEP_4)
	v_fma_f32 v46, 0xbf5ff5aa, v32, -v47
	ds_store_2addr_b64 v167, v[2:3], v[16:17] offset1:17
	ds_store_2addr_b64 v174, v[18:19], v[20:21] offset0:51 offset1:102
	ds_store_2addr_b64 v174, v[22:23], v[24:25] offset0:153 offset1:204
	v_add_nc_u32_e32 v2, 0x400, v173
	v_add_f32_e32 v40, v43, v41
	v_fma_f32 v38, 0xbf3bfb3b, v45, -v38
	v_fmamk_f32 v45, v35, 0xbeae86e6, v47
	v_fma_f32 v47, 0x3eae86e6, v37, -v48
	v_fma_f32 v48, 0x3eae86e6, v35, -v49
	v_add_f32_e32 v49, v34, v36
	v_dual_add_f32 v37, v42, v36 :: v_dual_fmac_f32 v46, 0xbee1c552, v33
	v_add_f32_e32 v42, v30, v36
	s_delay_alu instid0(VALU_DEP_2) | instskip(SKIP_3) | instid1(VALU_DEP_3)
	v_dual_add_f32 v41, v38, v41 :: v_dual_sub_f32 v34, v37, v46
	v_fmac_f32_e32 v48, 0xbee1c552, v33
	v_fmac_f32_e32 v45, 0xbee1c552, v33
	v_add_f32_e32 v36, v46, v37
	v_dual_add_f32 v32, v48, v42 :: v_dual_fmac_f32 v47, 0xbee1c552, v31
	s_delay_alu instid0(VALU_DEP_3) | instskip(SKIP_1) | instid1(VALU_DEP_3)
	v_dual_fmac_f32 v39, 0xbee1c552, v31 :: v_dual_add_f32 v30, v45, v49
	v_sub_f32_e32 v31, v50, v44
	v_dual_sub_f32 v38, v42, v48 :: v_dual_sub_f32 v33, v41, v47
	s_delay_alu instid0(VALU_DEP_3)
	v_add_f32_e32 v35, v39, v40
	v_sub_f32_e32 v37, v40, v39
	v_add_f32_e32 v39, v47, v41
	v_dual_sub_f32 v40, v49, v45 :: v_dual_add_f32 v41, v44, v50
	ds_store_2addr_b64 v6, v[26:27], v[28:29] offset0:127 offset1:178
	ds_store_2addr_b64 v167, v[0:1], v[4:5] offset0:34 offset1:51
	;; [unrolled: 1-line block ×5, first 2 shown]
	global_wb scope:SCOPE_SE
	s_wait_dscnt 0x0
	s_barrier_signal -1
	s_barrier_wait -1
	global_inv scope:SCOPE_SE
	ds_load_2addr_b64 v[0:3], v167 offset1:21
	v_mad_co_u64_u32 v[26:27], null, s4, v168, 0
	s_wait_dscnt 0x0
	v_mul_f32_e32 v4, v126, v1
	v_dual_mul_f32 v5, v126, v0 :: v_dual_mul_f32 v6, v136, v3
	s_delay_alu instid0(VALU_DEP_2) | instskip(NEXT) | instid1(VALU_DEP_2)
	v_fmac_f32_e32 v4, v125, v0
	v_fma_f32 v0, v125, v1, -v5
	s_delay_alu instid0(VALU_DEP_3) | instskip(SKIP_1) | instid1(VALU_DEP_4)
	v_fmac_f32_e32 v6, v135, v2
	v_mul_f32_e32 v1, v136, v2
	v_cvt_f64_f32_e32 v[8:9], v4
	s_delay_alu instid0(VALU_DEP_4) | instskip(NEXT) | instid1(VALU_DEP_4)
	v_cvt_f64_f32_e32 v[10:11], v0
	v_cvt_f64_f32_e32 v[12:13], v6
	s_delay_alu instid0(VALU_DEP_4) | instskip(NEXT) | instid1(VALU_DEP_1)
	v_fma_f32 v0, v135, v3, -v1
	v_cvt_f64_f32_e32 v[14:15], v0
	ds_load_2addr_b64 v[0:3], v167 offset0:42 offset1:63
	ds_load_2addr_b64 v[4:7], v167 offset0:84 offset1:105
	s_wait_dscnt 0x0
	v_dual_mul_f32 v16, v128, v1 :: v_dual_mul_f32 v23, v130, v6
	v_dual_mul_f32 v17, v128, v0 :: v_dual_mul_f32 v18, v134, v3
	s_delay_alu instid0(VALU_DEP_2) | instskip(NEXT) | instid1(VALU_DEP_3)
	v_dual_mul_f32 v19, v134, v2 :: v_dual_fmac_f32 v16, v127, v0
	v_fma_f32 v24, v129, v7, -v23
	s_delay_alu instid0(VALU_DEP_3) | instskip(NEXT) | instid1(VALU_DEP_4)
	v_fma_f32 v17, v127, v1, -v17
	v_fmac_f32_e32 v18, v133, v2
	v_mul_f32_e32 v20, v139, v5
	s_wait_alu 0xfffe
	v_mul_f64_e32 v[8:9], s[2:3], v[8:9]
	v_mul_f64_e32 v[10:11], s[2:3], v[10:11]
	;; [unrolled: 1-line block ×3, first 2 shown]
	v_cvt_f64_f32_e32 v[24:25], v24
	v_cvt_f64_f32_e32 v[0:1], v16
	;; [unrolled: 1-line block ×3, first 2 shown]
	v_fma_f32 v19, v133, v3, -v19
	v_mul_f32_e32 v21, v139, v4
	v_mul_f64_e32 v[14:15], s[2:3], v[14:15]
	v_cvt_f64_f32_e32 v[2:3], v18
	v_fmac_f32_e32 v20, v138, v4
	v_mul_f32_e32 v22, v130, v7
	v_fma_f32 v21, v138, v5, -v21
	v_cvt_f64_f32_e32 v[18:19], v19
	s_delay_alu instid0(VALU_DEP_4) | instskip(NEXT) | instid1(VALU_DEP_4)
	v_cvt_f64_f32_e32 v[4:5], v20
	v_fmac_f32_e32 v22, v129, v6
	s_delay_alu instid0(VALU_DEP_4) | instskip(NEXT) | instid1(VALU_DEP_2)
	v_cvt_f64_f32_e32 v[20:21], v21
	v_cvt_f64_f32_e32 v[6:7], v22
	v_mad_co_u64_u32 v[22:23], null, s6, v118, 0
	v_cvt_f32_f64_e32 v8, v[8:9]
	v_cvt_f32_f64_e32 v9, v[10:11]
	;; [unrolled: 1-line block ×3, first 2 shown]
	s_delay_alu instid0(VALU_DEP_4)
	v_mad_co_u64_u32 v[28:29], null, s7, v118, v[23:24]
	v_mov_b32_e32 v10, v27
	s_mul_u64 s[6:7], s[4:5], 21
	v_mul_f64_e32 v[0:1], s[2:3], v[0:1]
	v_cvt_f32_f64_e32 v12, v[14:15]
	v_mul_f64_e32 v[13:14], s[2:3], v[16:17]
	s_wait_alu 0xfffe
	s_lshl_b64 s[6:7], s[6:7], 3
	v_mov_b32_e32 v23, v28
	v_mul_f64_e32 v[24:25], s[2:3], v[24:25]
	v_mul_f64_e32 v[18:19], s[2:3], v[18:19]
	;; [unrolled: 1-line block ×4, first 2 shown]
	v_mad_co_u64_u32 v[15:16], null, s5, v168, v[10:11]
	v_mul_f64_e32 v[16:17], s[2:3], v[2:3]
	v_lshlrev_b64_e32 v[2:3], 3, v[22:23]
	v_mul_f64_e32 v[22:23], s[2:3], v[6:7]
	v_cvt_f32_f64_e32 v0, v[0:1]
	v_cvt_f32_f64_e32 v1, v[13:14]
	v_mov_b32_e32 v27, v15
	v_add_co_u32 v2, s0, s10, v2
	s_wait_alu 0xf1ff
	v_add_co_ci_u32_e64 v3, s0, s11, v3, s0
	s_delay_alu instid0(VALU_DEP_3) | instskip(SKIP_3) | instid1(VALU_DEP_4)
	v_lshlrev_b64_e32 v[4:5], 3, v[26:27]
	v_cvt_f32_f64_e32 v28, v[28:29]
	v_cvt_f32_f64_e32 v29, v[20:21]
	;; [unrolled: 1-line block ×3, first 2 shown]
	v_add_co_u32 v26, s0, v2, v4
	s_wait_alu 0xf1ff
	v_add_co_ci_u32_e64 v27, s0, v3, v5, s0
	ds_load_2addr_b64 v[4:7], v167 offset0:126 offset1:147
	s_wait_alu 0xfffe
	v_add_co_u32 v30, s0, v26, s6
	s_wait_alu 0xf1ff
	v_add_co_ci_u32_e64 v31, s0, s7, v27, s0
	s_clause 0x1
	global_store_b64 v[26:27], v[8:9], off
	global_store_b64 v[30:31], v[11:12], off
	s_clause 0x2
	scratch_load_b64 v[44:45], off, off offset:16 th:TH_LOAD_LU
	scratch_load_b64 v[56:57], off, off offset:8 th:TH_LOAD_LU
	scratch_load_b64 v[51:52], off, off th:TH_LOAD_LU
	v_add_co_u32 v26, s0, v30, s6
	ds_load_2addr_b64 v[8:11], v167 offset0:168 offset1:189
	s_wait_alu 0xf1ff
	v_add_co_ci_u32_e64 v27, s0, s7, v31, s0
	v_cvt_f32_f64_e32 v31, v[18:19]
	v_cvt_f32_f64_e32 v30, v[16:17]
	;; [unrolled: 1-line block ×3, first 2 shown]
	s_wait_dscnt 0x1
	v_mul_f32_e32 v16, v113, v5
	v_mul_f32_e32 v12, v113, v4
	s_delay_alu instid0(VALU_DEP_2) | instskip(NEXT) | instid1(VALU_DEP_2)
	v_fmac_f32_e32 v16, v112, v4
	v_fma_f32 v4, v112, v5, -v12
	ds_load_2addr_b64 v[12:15], v167 offset0:210 offset1:231
	v_mul_f32_e32 v17, v117, v7
	v_cvt_f64_f32_e32 v[22:23], v16
	v_cvt_f64_f32_e32 v[24:25], v4
	v_mul_f32_e32 v4, v117, v6
	s_wait_dscnt 0x1
	v_mul_f32_e32 v16, v122, v11
	s_delay_alu instid0(VALU_DEP_2) | instskip(NEXT) | instid1(VALU_DEP_2)
	v_fma_f32 v4, v116, v7, -v4
	v_fmac_f32_e32 v16, v121, v10
	v_mul_f32_e32 v10, v122, v10
	s_delay_alu instid0(VALU_DEP_2) | instskip(NEXT) | instid1(VALU_DEP_2)
	v_cvt_f64_f32_e32 v[38:39], v16
	v_fma_f32 v10, v121, v11, -v10
	s_wait_dscnt 0x0
	v_mul_f32_e32 v40, v124, v13
	v_dual_fmac_f32 v17, v116, v6 :: v_dual_mul_f32 v6, v115, v8
	v_add_nc_u32_e32 v7, 0x400, v167
	v_cvt_f64_f32_e32 v[10:11], v10
	s_delay_alu instid0(VALU_DEP_4) | instskip(SKIP_4) | instid1(VALU_DEP_4)
	v_fmac_f32_e32 v40, v123, v12
	v_mul_f64_e32 v[22:23], s[2:3], v[22:23]
	v_mul_f64_e32 v[24:25], s[2:3], v[24:25]
	v_mul_f64_e32 v[38:39], s[2:3], v[38:39]
	v_mul_f64_e32 v[10:11], s[2:3], v[10:11]
	v_cvt_f32_f64_e32 v22, v[22:23]
	s_delay_alu instid0(VALU_DEP_4) | instskip(NEXT) | instid1(VALU_DEP_4)
	v_cvt_f32_f64_e32 v23, v[24:25]
	v_cvt_f32_f64_e32 v38, v[38:39]
	s_delay_alu instid0(VALU_DEP_4) | instskip(SKIP_4) | instid1(VALU_DEP_3)
	v_cvt_f32_f64_e32 v39, v[10:11]
	s_wait_loadcnt 0x2
	v_dual_mul_f32 v42, v45, v15 :: v_dual_mul_f32 v5, v115, v9
	v_cvt_f64_f32_e32 v[32:33], v17
	v_fma_f32 v17, v114, v9, -v6
	v_dual_fmac_f32 v42, v44, v14 :: v_dual_fmac_f32 v5, v114, v8
	v_cvt_f64_f32_e32 v[8:9], v4
	s_delay_alu instid0(VALU_DEP_3)
	v_cvt_f64_f32_e32 v[36:37], v17
	ds_load_2addr_b64 v[16:19], v60 offset0:38 offset1:59
	v_mul_f32_e32 v41, v124, v12
	v_cvt_f64_f32_e32 v[34:35], v5
	ds_load_2addr_b64 v[4:7], v7 offset0:124 offset1:145
	v_mul_f32_e32 v43, v45, v14
	s_wait_loadcnt_dscnt 0x101
	v_mul_f32_e32 v50, v57, v17
	v_fma_f32 v41, v123, v13, -v41
	v_cvt_f64_f32_e32 v[12:13], v40
	s_wait_loadcnt_dscnt 0x0
	v_mul_f32_e32 v46, v52, v5
	v_fma_f32 v44, v44, v15, -v43
	v_mul_f32_e32 v48, v120, v7
	v_cvt_f64_f32_e32 v[14:15], v41
	v_cvt_f64_f32_e32 v[40:41], v42
	ds_load_b64 v[42:43], v167 offset:2688
	v_dual_mul_f32 v47, v52, v4 :: v_dual_fmac_f32 v48, v119, v6
	v_dual_mul_f32 v49, v120, v6 :: v_dual_fmac_f32 v46, v51, v4
	v_fmac_f32_e32 v50, v56, v16
	v_dual_mul_f32 v16, v57, v16 :: v_dual_mul_f32 v53, v132, v18
	v_cvt_f64_f32_e32 v[44:45], v44
	v_mul_f32_e32 v52, v132, v19
	v_fma_f32 v47, v51, v5, -v47
	v_fma_f32 v49, v119, v7, -v49
	;; [unrolled: 1-line block ×4, first 2 shown]
	v_fmac_f32_e32 v52, v131, v18
	v_cvt_f64_f32_e32 v[4:5], v46
	v_cvt_f64_f32_e32 v[6:7], v47
	v_cvt_f64_f32_e32 v[46:47], v48
	v_cvt_f64_f32_e32 v[48:49], v49
	v_cvt_f64_f32_e32 v[16:17], v16
	s_wait_dscnt 0x0
	v_mul_f32_e32 v54, v111, v43
	v_mul_f32_e32 v55, v111, v42
	v_cvt_f64_f32_e32 v[50:51], v50
	v_cvt_f64_f32_e32 v[18:19], v52
	v_mul_f64_e32 v[32:33], s[2:3], v[32:33]
	v_fmac_f32_e32 v54, v110, v42
	v_fma_f32 v55, v110, v43, -v55
	v_cvt_f64_f32_e32 v[42:43], v53
	v_mul_f64_e32 v[8:9], s[2:3], v[8:9]
	v_add_co_u32 v56, s0, v26, s6
	v_cvt_f64_f32_e32 v[52:53], v54
	v_cvt_f64_f32_e32 v[54:55], v55
	s_wait_alu 0xf1ff
	v_add_co_ci_u32_e64 v57, s0, s7, v27, s0
	v_mul_f64_e32 v[34:35], s[2:3], v[34:35]
	v_mul_f64_e32 v[36:37], s[2:3], v[36:37]
	v_add_co_u32 v58, s0, v56, s6
	s_wait_alu 0xf1ff
	v_add_co_ci_u32_e64 v59, s0, s7, v57, s0
	v_mul_f64_e32 v[12:13], s[2:3], v[12:13]
	v_mul_f64_e32 v[14:15], s[2:3], v[14:15]
	v_add_co_u32 v61, s0, v58, s6
	s_wait_alu 0xf1ff
	v_add_co_ci_u32_e64 v62, s0, s7, v59, s0
	s_clause 0x2
	global_store_b64 v[26:27], v[0:1], off
	global_store_b64 v[56:57], v[30:31], off
	;; [unrolled: 1-line block ×4, first 2 shown]
	v_mul_f64_e32 v[0:1], s[2:3], v[40:41]
	v_mul_f64_e32 v[20:21], s[2:3], v[44:45]
	v_add_co_u32 v24, s0, v61, s6
	s_wait_alu 0xf1ff
	v_add_co_ci_u32_e64 v25, s0, s7, v62, s0
	v_mul_f64_e32 v[4:5], s[2:3], v[4:5]
	v_mul_f64_e32 v[6:7], s[2:3], v[6:7]
	;; [unrolled: 1-line block ×5, first 2 shown]
	global_store_b64 v[24:25], v[22:23], off
	v_mul_f64_e32 v[30:31], s[2:3], v[50:51]
	v_mul_f64_e32 v[18:19], s[2:3], v[18:19]
	v_cvt_f32_f64_e32 v32, v[32:33]
	v_mul_f64_e32 v[40:41], s[2:3], v[42:43]
	v_cvt_f32_f64_e32 v33, v[8:9]
	v_add_co_u32 v8, s0, v24, s6
	v_mul_f64_e32 v[42:43], s[2:3], v[52:53]
	v_mul_f64_e32 v[44:45], s[2:3], v[54:55]
	s_wait_alu 0xf1ff
	v_add_co_ci_u32_e64 v9, s0, s7, v25, s0
	v_cvt_f32_f64_e32 v34, v[34:35]
	v_cvt_f32_f64_e32 v35, v[36:37]
	v_add_co_u32 v36, s0, v8, s6
	s_wait_alu 0xf1ff
	v_add_co_ci_u32_e64 v37, s0, s7, v9, s0
	v_cvt_f32_f64_e32 v10, v[12:13]
	v_cvt_f32_f64_e32 v11, v[14:15]
	v_add_co_u32 v12, s0, v36, s6
	;; [unrolled: 5-line block ×3, first 2 shown]
	s_wait_alu 0xf1ff
	v_add_co_ci_u32_e64 v21, s0, s7, v13, s0
	v_cvt_f32_f64_e32 v4, v[4:5]
	v_cvt_f32_f64_e32 v5, v[6:7]
	;; [unrolled: 1-line block ×5, first 2 shown]
	v_add_co_u32 v22, s0, v20, s6
	v_cvt_f32_f64_e32 v14, v[30:31]
	v_cvt_f32_f64_e32 v16, v[18:19]
	s_wait_alu 0xf1ff
	v_add_co_ci_u32_e64 v23, s0, s7, v21, s0
	v_cvt_f32_f64_e32 v17, v[40:41]
	global_store_b64 v[8:9], v[32:33], off
	v_add_co_u32 v8, s0, v22, s6
	v_cvt_f32_f64_e32 v18, v[42:43]
	v_cvt_f32_f64_e32 v19, v[44:45]
	s_wait_alu 0xf1ff
	v_add_co_ci_u32_e64 v9, s0, s7, v23, s0
	v_add_co_u32 v24, s0, v8, s6
	global_store_b64 v[36:37], v[34:35], off
	s_wait_alu 0xf1ff
	v_add_co_ci_u32_e64 v25, s0, s7, v9, s0
	global_store_b64 v[12:13], v[38:39], off
	v_add_co_u32 v12, s0, v24, s6
	s_wait_alu 0xf1ff
	v_add_co_ci_u32_e64 v13, s0, s7, v25, s0
	global_store_b64 v[20:21], v[10:11], off
	v_add_co_u32 v10, s0, v12, s6
	;; [unrolled: 4-line block ×3, first 2 shown]
	s_wait_alu 0xf1ff
	v_add_co_ci_u32_e64 v1, s0, s7, v11, s0
	global_store_b64 v[8:9], v[4:5], off
	global_store_b64 v[24:25], v[6:7], off
	global_store_b64 v[12:13], v[14:15], off
	global_store_b64 v[10:11], v[16:17], off
	global_store_b64 v[0:1], v[18:19], off
	s_and_b32 exec_lo, exec_lo, vcc_lo
	s_cbranch_execz .LBB0_15
; %bb.14:
	global_load_b64 v[8:9], v[104:105], off offset:136
	ds_load_2addr_b64 v[4:7], v167 offset0:17 offset1:38
	v_mad_co_u64_u32 v[0:1], null, 0xfffff608, s4, v[0:1]
	s_mul_i32 s0, s5, 0xfffff608
	s_wait_alu 0xfffe
	s_sub_co_i32 s0, s0, s4
	s_wait_alu 0xfffe
	s_delay_alu instid0(VALU_DEP_1) | instskip(SKIP_4) | instid1(VALU_DEP_2)
	v_add_nc_u32_e32 v1, s0, v1
	s_mul_u64 s[0:1], s[4:5], 0x150
	s_wait_loadcnt_dscnt 0x0
	v_mul_f32_e32 v10, v5, v9
	v_mul_f32_e32 v9, v4, v9
	v_fmac_f32_e32 v10, v4, v8
	s_delay_alu instid0(VALU_DEP_2) | instskip(NEXT) | instid1(VALU_DEP_2)
	v_fma_f32 v8, v8, v5, -v9
	v_cvt_f64_f32_e32 v[4:5], v10
	s_delay_alu instid0(VALU_DEP_2) | instskip(NEXT) | instid1(VALU_DEP_2)
	v_cvt_f64_f32_e32 v[8:9], v8
	v_mul_f64_e32 v[4:5], s[2:3], v[4:5]
	s_delay_alu instid0(VALU_DEP_2) | instskip(NEXT) | instid1(VALU_DEP_2)
	v_mul_f64_e32 v[8:9], s[2:3], v[8:9]
	v_cvt_f32_f64_e32 v4, v[4:5]
	s_delay_alu instid0(VALU_DEP_2)
	v_cvt_f32_f64_e32 v5, v[8:9]
	global_store_b64 v[0:1], v[4:5], off
	global_load_b64 v[4:5], v[104:105], off offset:304
	v_add_co_u32 v0, vcc_lo, v0, s6
	s_wait_alu 0xfffd
	v_add_co_ci_u32_e32 v1, vcc_lo, s7, v1, vcc_lo
	s_wait_loadcnt 0x0
	v_mul_f32_e32 v8, v7, v5
	v_mul_f32_e32 v5, v6, v5
	s_delay_alu instid0(VALU_DEP_2) | instskip(NEXT) | instid1(VALU_DEP_2)
	v_fmac_f32_e32 v8, v6, v4
	v_fma_f32 v6, v4, v7, -v5
	s_delay_alu instid0(VALU_DEP_2) | instskip(NEXT) | instid1(VALU_DEP_2)
	v_cvt_f64_f32_e32 v[4:5], v8
	v_cvt_f64_f32_e32 v[6:7], v6
	s_delay_alu instid0(VALU_DEP_2) | instskip(NEXT) | instid1(VALU_DEP_2)
	v_mul_f64_e32 v[4:5], s[2:3], v[4:5]
	v_mul_f64_e32 v[6:7], s[2:3], v[6:7]
	s_delay_alu instid0(VALU_DEP_2) | instskip(NEXT) | instid1(VALU_DEP_2)
	v_cvt_f32_f64_e32 v4, v[4:5]
	v_cvt_f32_f64_e32 v5, v[6:7]
	global_store_b64 v[0:1], v[4:5], off
	global_load_b64 v[8:9], v[104:105], off offset:472
	ds_load_2addr_b64 v[4:7], v167 offset0:59 offset1:80
	v_add_co_u32 v0, vcc_lo, v0, s6
	s_wait_alu 0xfffd
	v_add_co_ci_u32_e32 v1, vcc_lo, s7, v1, vcc_lo
	s_wait_loadcnt_dscnt 0x0
	v_mul_f32_e32 v10, v5, v9
	v_mul_f32_e32 v9, v4, v9
	s_delay_alu instid0(VALU_DEP_2) | instskip(NEXT) | instid1(VALU_DEP_2)
	v_fmac_f32_e32 v10, v4, v8
	v_fma_f32 v8, v8, v5, -v9
	s_delay_alu instid0(VALU_DEP_2) | instskip(NEXT) | instid1(VALU_DEP_2)
	v_cvt_f64_f32_e32 v[4:5], v10
	v_cvt_f64_f32_e32 v[8:9], v8
	scratch_load_b32 v10, off, off offset:24 th:TH_LOAD_LU ; 4-byte Folded Reload
	v_mul_f64_e32 v[4:5], s[2:3], v[4:5]
	v_mul_f64_e32 v[8:9], s[2:3], v[8:9]
	s_delay_alu instid0(VALU_DEP_2) | instskip(NEXT) | instid1(VALU_DEP_2)
	v_cvt_f32_f64_e32 v4, v[4:5]
	v_cvt_f32_f64_e32 v5, v[8:9]
	global_store_b64 v[0:1], v[4:5], off
	global_load_b64 v[4:5], v[104:105], off offset:640
	s_wait_loadcnt 0x0
	v_mul_f32_e32 v8, v7, v5
	v_mul_f32_e32 v5, v6, v5
	s_delay_alu instid0(VALU_DEP_2) | instskip(NEXT) | instid1(VALU_DEP_2)
	v_fmac_f32_e32 v8, v6, v4
	v_fma_f32 v6, v4, v7, -v5
	s_delay_alu instid0(VALU_DEP_2) | instskip(NEXT) | instid1(VALU_DEP_2)
	v_cvt_f64_f32_e32 v[4:5], v8
	v_cvt_f64_f32_e32 v[6:7], v6
	v_mad_co_u64_u32 v[8:9], null, s4, v10, 0
	s_delay_alu instid0(VALU_DEP_3) | instskip(NEXT) | instid1(VALU_DEP_3)
	v_mul_f64_e32 v[4:5], s[2:3], v[4:5]
	v_mul_f64_e32 v[6:7], s[2:3], v[6:7]
	s_delay_alu instid0(VALU_DEP_2) | instskip(NEXT) | instid1(VALU_DEP_2)
	v_cvt_f32_f64_e32 v4, v[4:5]
	v_cvt_f32_f64_e32 v5, v[6:7]
	v_mov_b32_e32 v6, v9
	s_delay_alu instid0(VALU_DEP_1) | instskip(NEXT) | instid1(VALU_DEP_1)
	v_mad_co_u64_u32 v[6:7], null, s5, v10, v[6:7]
	v_mov_b32_e32 v9, v6
	s_delay_alu instid0(VALU_DEP_1) | instskip(NEXT) | instid1(VALU_DEP_1)
	v_lshlrev_b64_e32 v[6:7], 3, v[8:9]
	v_add_co_u32 v6, vcc_lo, v2, v6
	s_wait_alu 0xfffd
	s_delay_alu instid0(VALU_DEP_2)
	v_add_co_ci_u32_e32 v7, vcc_lo, v3, v7, vcc_lo
	s_wait_alu 0xfffe
	v_add_co_u32 v0, vcc_lo, v0, s0
	s_wait_alu 0xfffd
	v_add_co_ci_u32_e32 v1, vcc_lo, s1, v1, vcc_lo
	global_store_b64 v[6:7], v[4:5], off
	global_load_b64 v[8:9], v[104:105], off offset:808
	ds_load_2addr_b64 v[4:7], v167 offset0:101 offset1:122
	s_wait_loadcnt_dscnt 0x0
	v_mul_f32_e32 v10, v5, v9
	v_mul_f32_e32 v9, v4, v9
	s_delay_alu instid0(VALU_DEP_2) | instskip(NEXT) | instid1(VALU_DEP_2)
	v_fmac_f32_e32 v10, v4, v8
	v_fma_f32 v8, v8, v5, -v9
	s_delay_alu instid0(VALU_DEP_2) | instskip(NEXT) | instid1(VALU_DEP_2)
	v_cvt_f64_f32_e32 v[4:5], v10
	v_cvt_f64_f32_e32 v[8:9], v8
	s_delay_alu instid0(VALU_DEP_2) | instskip(NEXT) | instid1(VALU_DEP_2)
	v_mul_f64_e32 v[4:5], s[2:3], v[4:5]
	v_mul_f64_e32 v[8:9], s[2:3], v[8:9]
	s_delay_alu instid0(VALU_DEP_2) | instskip(NEXT) | instid1(VALU_DEP_2)
	v_cvt_f32_f64_e32 v4, v[4:5]
	v_cvt_f32_f64_e32 v5, v[8:9]
	global_store_b64 v[0:1], v[4:5], off
	global_load_b64 v[4:5], v[104:105], off offset:976
	v_add_co_u32 v0, vcc_lo, v0, s6
	s_wait_alu 0xfffd
	v_add_co_ci_u32_e32 v1, vcc_lo, s7, v1, vcc_lo
	s_wait_loadcnt 0x0
	v_mul_f32_e32 v8, v7, v5
	v_mul_f32_e32 v5, v6, v5
	s_delay_alu instid0(VALU_DEP_2) | instskip(NEXT) | instid1(VALU_DEP_2)
	v_fmac_f32_e32 v8, v6, v4
	v_fma_f32 v6, v4, v7, -v5
	s_delay_alu instid0(VALU_DEP_2) | instskip(NEXT) | instid1(VALU_DEP_2)
	v_cvt_f64_f32_e32 v[4:5], v8
	v_cvt_f64_f32_e32 v[6:7], v6
	s_delay_alu instid0(VALU_DEP_2) | instskip(NEXT) | instid1(VALU_DEP_2)
	v_mul_f64_e32 v[4:5], s[2:3], v[4:5]
	v_mul_f64_e32 v[6:7], s[2:3], v[6:7]
	s_delay_alu instid0(VALU_DEP_2) | instskip(NEXT) | instid1(VALU_DEP_2)
	v_cvt_f32_f64_e32 v4, v[4:5]
	v_cvt_f32_f64_e32 v5, v[6:7]
	global_store_b64 v[0:1], v[4:5], off
	global_load_b64 v[8:9], v[104:105], off offset:1144
	ds_load_2addr_b64 v[4:7], v167 offset0:143 offset1:164
	v_add_co_u32 v0, vcc_lo, v0, s6
	s_wait_alu 0xfffd
	v_add_co_ci_u32_e32 v1, vcc_lo, s7, v1, vcc_lo
	s_wait_loadcnt_dscnt 0x0
	v_mul_f32_e32 v10, v5, v9
	v_mul_f32_e32 v9, v4, v9
	s_delay_alu instid0(VALU_DEP_2) | instskip(NEXT) | instid1(VALU_DEP_2)
	v_fmac_f32_e32 v10, v4, v8
	v_fma_f32 v8, v8, v5, -v9
	s_delay_alu instid0(VALU_DEP_2) | instskip(NEXT) | instid1(VALU_DEP_2)
	v_cvt_f64_f32_e32 v[4:5], v10
	v_cvt_f64_f32_e32 v[8:9], v8
	scratch_load_b32 v10, off, off offset:32 th:TH_LOAD_LU ; 4-byte Folded Reload
	v_mul_f64_e32 v[4:5], s[2:3], v[4:5]
	v_mul_f64_e32 v[8:9], s[2:3], v[8:9]
	s_delay_alu instid0(VALU_DEP_2) | instskip(NEXT) | instid1(VALU_DEP_2)
	v_cvt_f32_f64_e32 v4, v[4:5]
	v_cvt_f32_f64_e32 v5, v[8:9]
	global_store_b64 v[0:1], v[4:5], off
	global_load_b64 v[4:5], v[104:105], off offset:1312
	s_wait_loadcnt 0x0
	v_mul_f32_e32 v8, v7, v5
	v_mul_f32_e32 v5, v6, v5
	s_delay_alu instid0(VALU_DEP_2) | instskip(NEXT) | instid1(VALU_DEP_2)
	v_fmac_f32_e32 v8, v6, v4
	v_fma_f32 v6, v4, v7, -v5
	s_delay_alu instid0(VALU_DEP_2) | instskip(NEXT) | instid1(VALU_DEP_2)
	v_cvt_f64_f32_e32 v[4:5], v8
	v_cvt_f64_f32_e32 v[6:7], v6
	v_mad_co_u64_u32 v[8:9], null, s4, v10, 0
	s_delay_alu instid0(VALU_DEP_3) | instskip(NEXT) | instid1(VALU_DEP_3)
	v_mul_f64_e32 v[4:5], s[2:3], v[4:5]
	v_mul_f64_e32 v[6:7], s[2:3], v[6:7]
	s_delay_alu instid0(VALU_DEP_2) | instskip(NEXT) | instid1(VALU_DEP_2)
	v_cvt_f32_f64_e32 v4, v[4:5]
	v_cvt_f32_f64_e32 v5, v[6:7]
	v_mov_b32_e32 v6, v9
	s_delay_alu instid0(VALU_DEP_1) | instskip(NEXT) | instid1(VALU_DEP_1)
	v_mad_co_u64_u32 v[6:7], null, s5, v10, v[6:7]
	v_mov_b32_e32 v9, v6
	s_delay_alu instid0(VALU_DEP_1) | instskip(NEXT) | instid1(VALU_DEP_1)
	v_lshlrev_b64_e32 v[6:7], 3, v[8:9]
	v_add_co_u32 v6, vcc_lo, v2, v6
	s_wait_alu 0xfffd
	s_delay_alu instid0(VALU_DEP_2)
	v_add_co_ci_u32_e32 v7, vcc_lo, v3, v7, vcc_lo
	v_add_co_u32 v0, vcc_lo, v0, s0
	s_wait_alu 0xfffd
	v_add_co_ci_u32_e32 v1, vcc_lo, s1, v1, vcc_lo
	global_store_b64 v[6:7], v[4:5], off
	global_load_b64 v[8:9], v[104:105], off offset:1480
	ds_load_2addr_b64 v[4:7], v167 offset0:185 offset1:206
	s_wait_loadcnt_dscnt 0x0
	v_mul_f32_e32 v10, v5, v9
	v_mul_f32_e32 v9, v4, v9
	s_delay_alu instid0(VALU_DEP_2) | instskip(NEXT) | instid1(VALU_DEP_2)
	v_fmac_f32_e32 v10, v4, v8
	v_fma_f32 v8, v8, v5, -v9
	s_delay_alu instid0(VALU_DEP_2) | instskip(NEXT) | instid1(VALU_DEP_2)
	v_cvt_f64_f32_e32 v[4:5], v10
	v_cvt_f64_f32_e32 v[8:9], v8
	s_delay_alu instid0(VALU_DEP_2) | instskip(NEXT) | instid1(VALU_DEP_2)
	v_mul_f64_e32 v[4:5], s[2:3], v[4:5]
	v_mul_f64_e32 v[8:9], s[2:3], v[8:9]
	s_delay_alu instid0(VALU_DEP_2) | instskip(NEXT) | instid1(VALU_DEP_2)
	v_cvt_f32_f64_e32 v4, v[4:5]
	v_cvt_f32_f64_e32 v5, v[8:9]
	global_store_b64 v[0:1], v[4:5], off
	global_load_b64 v[4:5], v[104:105], off offset:1648
	v_add_co_u32 v0, vcc_lo, v0, s6
	s_wait_alu 0xfffd
	v_add_co_ci_u32_e32 v1, vcc_lo, s7, v1, vcc_lo
	s_wait_loadcnt 0x0
	v_mul_f32_e32 v8, v7, v5
	v_mul_f32_e32 v5, v6, v5
	s_delay_alu instid0(VALU_DEP_2) | instskip(NEXT) | instid1(VALU_DEP_2)
	v_fmac_f32_e32 v8, v6, v4
	v_fma_f32 v6, v4, v7, -v5
	s_delay_alu instid0(VALU_DEP_2) | instskip(NEXT) | instid1(VALU_DEP_2)
	v_cvt_f64_f32_e32 v[4:5], v8
	v_cvt_f64_f32_e32 v[6:7], v6
	s_delay_alu instid0(VALU_DEP_2) | instskip(NEXT) | instid1(VALU_DEP_2)
	v_mul_f64_e32 v[4:5], s[2:3], v[4:5]
	v_mul_f64_e32 v[6:7], s[2:3], v[6:7]
	s_delay_alu instid0(VALU_DEP_2) | instskip(NEXT) | instid1(VALU_DEP_2)
	v_cvt_f32_f64_e32 v4, v[4:5]
	v_cvt_f32_f64_e32 v5, v[6:7]
	global_store_b64 v[0:1], v[4:5], off
	global_load_b64 v[8:9], v[104:105], off offset:1816
	ds_load_2addr_b64 v[4:7], v167 offset0:227 offset1:248
	v_add_co_u32 v0, vcc_lo, v0, s6
	s_wait_alu 0xfffd
	v_add_co_ci_u32_e32 v1, vcc_lo, s7, v1, vcc_lo
	s_wait_loadcnt_dscnt 0x0
	v_mul_f32_e32 v10, v5, v9
	v_mul_f32_e32 v9, v4, v9
	s_delay_alu instid0(VALU_DEP_2) | instskip(NEXT) | instid1(VALU_DEP_2)
	v_fmac_f32_e32 v10, v4, v8
	v_fma_f32 v8, v8, v5, -v9
	s_delay_alu instid0(VALU_DEP_2) | instskip(NEXT) | instid1(VALU_DEP_2)
	v_cvt_f64_f32_e32 v[4:5], v10
	v_cvt_f64_f32_e32 v[8:9], v8
	scratch_load_b32 v10, off, off offset:28 th:TH_LOAD_LU ; 4-byte Folded Reload
	v_mul_f64_e32 v[4:5], s[2:3], v[4:5]
	v_mul_f64_e32 v[8:9], s[2:3], v[8:9]
	s_delay_alu instid0(VALU_DEP_2) | instskip(NEXT) | instid1(VALU_DEP_2)
	v_cvt_f32_f64_e32 v4, v[4:5]
	v_cvt_f32_f64_e32 v5, v[8:9]
	global_store_b64 v[0:1], v[4:5], off
	global_load_b64 v[4:5], v[104:105], off offset:1984
	s_wait_loadcnt 0x0
	v_mul_f32_e32 v8, v7, v5
	v_mul_f32_e32 v5, v6, v5
	s_delay_alu instid0(VALU_DEP_2) | instskip(NEXT) | instid1(VALU_DEP_2)
	v_fmac_f32_e32 v8, v6, v4
	v_fma_f32 v6, v4, v7, -v5
	s_delay_alu instid0(VALU_DEP_2) | instskip(NEXT) | instid1(VALU_DEP_2)
	v_cvt_f64_f32_e32 v[4:5], v8
	v_cvt_f64_f32_e32 v[6:7], v6
	v_mad_co_u64_u32 v[8:9], null, s4, v10, 0
	s_delay_alu instid0(VALU_DEP_3) | instskip(NEXT) | instid1(VALU_DEP_3)
	v_mul_f64_e32 v[4:5], s[2:3], v[4:5]
	v_mul_f64_e32 v[6:7], s[2:3], v[6:7]
	s_delay_alu instid0(VALU_DEP_2) | instskip(NEXT) | instid1(VALU_DEP_2)
	v_cvt_f32_f64_e32 v4, v[4:5]
	v_cvt_f32_f64_e32 v5, v[6:7]
	v_mov_b32_e32 v6, v9
	s_delay_alu instid0(VALU_DEP_1) | instskip(NEXT) | instid1(VALU_DEP_1)
	v_mad_co_u64_u32 v[6:7], null, s5, v10, v[6:7]
	v_mov_b32_e32 v9, v6
	s_delay_alu instid0(VALU_DEP_1) | instskip(NEXT) | instid1(VALU_DEP_1)
	v_lshlrev_b64_e32 v[6:7], 3, v[8:9]
	v_add_co_u32 v6, vcc_lo, v2, v6
	s_wait_alu 0xfffd
	s_delay_alu instid0(VALU_DEP_2)
	v_add_co_ci_u32_e32 v7, vcc_lo, v3, v7, vcc_lo
	v_add_co_u32 v0, vcc_lo, v0, s0
	s_wait_alu 0xfffd
	v_add_co_ci_u32_e32 v1, vcc_lo, s1, v1, vcc_lo
	global_store_b64 v[6:7], v[4:5], off
	global_load_b64 v[8:9], v[104:105], off offset:2152
	ds_load_2addr_b64 v[4:7], v60 offset0:13 offset1:34
	s_wait_loadcnt_dscnt 0x0
	v_mul_f32_e32 v10, v5, v9
	v_mul_f32_e32 v9, v4, v9
	s_delay_alu instid0(VALU_DEP_2) | instskip(NEXT) | instid1(VALU_DEP_2)
	v_fmac_f32_e32 v10, v4, v8
	v_fma_f32 v8, v8, v5, -v9
	s_delay_alu instid0(VALU_DEP_2) | instskip(NEXT) | instid1(VALU_DEP_2)
	v_cvt_f64_f32_e32 v[4:5], v10
	v_cvt_f64_f32_e32 v[8:9], v8
	s_delay_alu instid0(VALU_DEP_2) | instskip(NEXT) | instid1(VALU_DEP_2)
	v_mul_f64_e32 v[4:5], s[2:3], v[4:5]
	v_mul_f64_e32 v[8:9], s[2:3], v[8:9]
	s_delay_alu instid0(VALU_DEP_2) | instskip(NEXT) | instid1(VALU_DEP_2)
	v_cvt_f32_f64_e32 v4, v[4:5]
	v_cvt_f32_f64_e32 v5, v[8:9]
	global_store_b64 v[0:1], v[4:5], off
	global_load_b64 v[4:5], v[104:105], off offset:2320
	v_add_co_u32 v0, vcc_lo, v0, s6
	s_wait_alu 0xfffd
	v_add_co_ci_u32_e32 v1, vcc_lo, s7, v1, vcc_lo
	s_wait_loadcnt 0x0
	v_mul_f32_e32 v8, v7, v5
	v_mul_f32_e32 v5, v6, v5
	s_delay_alu instid0(VALU_DEP_2) | instskip(NEXT) | instid1(VALU_DEP_2)
	v_fmac_f32_e32 v8, v6, v4
	v_fma_f32 v6, v4, v7, -v5
	s_delay_alu instid0(VALU_DEP_2) | instskip(NEXT) | instid1(VALU_DEP_2)
	v_cvt_f64_f32_e32 v[4:5], v8
	v_cvt_f64_f32_e32 v[6:7], v6
	s_delay_alu instid0(VALU_DEP_2) | instskip(NEXT) | instid1(VALU_DEP_2)
	v_mul_f64_e32 v[4:5], s[2:3], v[4:5]
	v_mul_f64_e32 v[6:7], s[2:3], v[6:7]
	s_delay_alu instid0(VALU_DEP_2) | instskip(NEXT) | instid1(VALU_DEP_2)
	v_cvt_f32_f64_e32 v4, v[4:5]
	v_cvt_f32_f64_e32 v5, v[6:7]
	global_store_b64 v[0:1], v[4:5], off
	global_load_b64 v[8:9], v[104:105], off offset:2488
	ds_load_2addr_b64 v[4:7], v60 offset0:55 offset1:76
	v_add_co_u32 v0, vcc_lo, v0, s6
	s_wait_alu 0xfffd
	v_add_co_ci_u32_e32 v1, vcc_lo, s7, v1, vcc_lo
	s_wait_loadcnt_dscnt 0x0
	v_mul_f32_e32 v10, v5, v9
	v_mul_f32_e32 v9, v4, v9
	s_delay_alu instid0(VALU_DEP_2) | instskip(NEXT) | instid1(VALU_DEP_2)
	v_fmac_f32_e32 v10, v4, v8
	v_fma_f32 v8, v8, v5, -v9
	s_delay_alu instid0(VALU_DEP_2) | instskip(NEXT) | instid1(VALU_DEP_2)
	v_cvt_f64_f32_e32 v[4:5], v10
	v_cvt_f64_f32_e32 v[8:9], v8
	s_delay_alu instid0(VALU_DEP_2) | instskip(NEXT) | instid1(VALU_DEP_2)
	v_mul_f64_e32 v[4:5], s[2:3], v[4:5]
	v_mul_f64_e32 v[8:9], s[2:3], v[8:9]
	s_delay_alu instid0(VALU_DEP_2) | instskip(NEXT) | instid1(VALU_DEP_2)
	v_cvt_f32_f64_e32 v4, v[4:5]
	v_cvt_f32_f64_e32 v5, v[8:9]
	global_store_b64 v[0:1], v[4:5], off
	global_load_b64 v[4:5], v[104:105], off offset:2656
	s_wait_loadcnt 0x0
	v_mul_f32_e32 v8, v7, v5
	v_mul_f32_e32 v5, v6, v5
	s_delay_alu instid0(VALU_DEP_2) | instskip(NEXT) | instid1(VALU_DEP_2)
	v_fmac_f32_e32 v8, v6, v4
	v_fma_f32 v6, v4, v7, -v5
	s_delay_alu instid0(VALU_DEP_2) | instskip(NEXT) | instid1(VALU_DEP_2)
	v_cvt_f64_f32_e32 v[4:5], v8
	v_cvt_f64_f32_e32 v[6:7], v6
	v_mad_co_u64_u32 v[8:9], null, s4, v169, 0
	s_delay_alu instid0(VALU_DEP_3) | instskip(NEXT) | instid1(VALU_DEP_3)
	v_mul_f64_e32 v[4:5], s[2:3], v[4:5]
	v_mul_f64_e32 v[6:7], s[2:3], v[6:7]
	s_delay_alu instid0(VALU_DEP_2) | instskip(NEXT) | instid1(VALU_DEP_2)
	v_cvt_f32_f64_e32 v4, v[4:5]
	v_cvt_f32_f64_e32 v5, v[6:7]
	v_mov_b32_e32 v6, v9
	s_delay_alu instid0(VALU_DEP_1) | instskip(NEXT) | instid1(VALU_DEP_1)
	v_mad_co_u64_u32 v[6:7], null, s5, v169, v[6:7]
	v_mov_b32_e32 v9, v6
	s_delay_alu instid0(VALU_DEP_1) | instskip(NEXT) | instid1(VALU_DEP_1)
	v_lshlrev_b64_e32 v[6:7], 3, v[8:9]
	v_add_co_u32 v2, vcc_lo, v2, v6
	s_wait_alu 0xfffd
	s_delay_alu instid0(VALU_DEP_2)
	v_add_co_ci_u32_e32 v3, vcc_lo, v3, v7, vcc_lo
	v_add_co_u32 v0, vcc_lo, v0, s0
	s_wait_alu 0xfffd
	v_add_co_ci_u32_e32 v1, vcc_lo, s1, v1, vcc_lo
	global_store_b64 v[2:3], v[4:5], off
	global_load_b64 v[2:3], v[104:105], off offset:2824
	ds_load_b64 v[4:5], v167 offset:2824
	s_wait_loadcnt_dscnt 0x0
	v_mul_f32_e32 v6, v5, v3
	v_mul_f32_e32 v3, v4, v3
	s_delay_alu instid0(VALU_DEP_2) | instskip(NEXT) | instid1(VALU_DEP_2)
	v_fmac_f32_e32 v6, v4, v2
	v_fma_f32 v4, v2, v5, -v3
	s_delay_alu instid0(VALU_DEP_2) | instskip(NEXT) | instid1(VALU_DEP_2)
	v_cvt_f64_f32_e32 v[2:3], v6
	v_cvt_f64_f32_e32 v[4:5], v4
	s_delay_alu instid0(VALU_DEP_2) | instskip(NEXT) | instid1(VALU_DEP_2)
	v_mul_f64_e32 v[2:3], s[2:3], v[2:3]
	v_mul_f64_e32 v[4:5], s[2:3], v[4:5]
	s_delay_alu instid0(VALU_DEP_2) | instskip(NEXT) | instid1(VALU_DEP_2)
	v_cvt_f32_f64_e32 v2, v[2:3]
	v_cvt_f32_f64_e32 v3, v[4:5]
	global_store_b64 v[0:1], v[2:3], off
.LBB0_15:
	s_nop 0
	s_sendmsg sendmsg(MSG_DEALLOC_VGPRS)
	s_endpgm
	.section	.rodata,"a",@progbits
	.p2align	6, 0x0
	.amdhsa_kernel bluestein_single_fwd_len357_dim1_sp_op_CI_CI
		.amdhsa_group_segment_fixed_size 31416
		.amdhsa_private_segment_fixed_size 116
		.amdhsa_kernarg_size 104
		.amdhsa_user_sgpr_count 2
		.amdhsa_user_sgpr_dispatch_ptr 0
		.amdhsa_user_sgpr_queue_ptr 0
		.amdhsa_user_sgpr_kernarg_segment_ptr 1
		.amdhsa_user_sgpr_dispatch_id 0
		.amdhsa_user_sgpr_private_segment_size 0
		.amdhsa_wavefront_size32 1
		.amdhsa_uses_dynamic_stack 0
		.amdhsa_enable_private_segment 1
		.amdhsa_system_sgpr_workgroup_id_x 1
		.amdhsa_system_sgpr_workgroup_id_y 0
		.amdhsa_system_sgpr_workgroup_id_z 0
		.amdhsa_system_sgpr_workgroup_info 0
		.amdhsa_system_vgpr_workitem_id 0
		.amdhsa_next_free_vgpr 256
		.amdhsa_next_free_sgpr 18
		.amdhsa_reserve_vcc 1
		.amdhsa_float_round_mode_32 0
		.amdhsa_float_round_mode_16_64 0
		.amdhsa_float_denorm_mode_32 3
		.amdhsa_float_denorm_mode_16_64 3
		.amdhsa_fp16_overflow 0
		.amdhsa_workgroup_processor_mode 1
		.amdhsa_memory_ordered 1
		.amdhsa_forward_progress 0
		.amdhsa_round_robin_scheduling 0
		.amdhsa_exception_fp_ieee_invalid_op 0
		.amdhsa_exception_fp_denorm_src 0
		.amdhsa_exception_fp_ieee_div_zero 0
		.amdhsa_exception_fp_ieee_overflow 0
		.amdhsa_exception_fp_ieee_underflow 0
		.amdhsa_exception_fp_ieee_inexact 0
		.amdhsa_exception_int_div_zero 0
	.end_amdhsa_kernel
	.text
.Lfunc_end0:
	.size	bluestein_single_fwd_len357_dim1_sp_op_CI_CI, .Lfunc_end0-bluestein_single_fwd_len357_dim1_sp_op_CI_CI
                                        ; -- End function
	.section	.AMDGPU.csdata,"",@progbits
; Kernel info:
; codeLenInByte = 38052
; NumSgprs: 20
; NumVgprs: 256
; ScratchSize: 116
; MemoryBound: 0
; FloatMode: 240
; IeeeMode: 1
; LDSByteSize: 31416 bytes/workgroup (compile time only)
; SGPRBlocks: 2
; VGPRBlocks: 31
; NumSGPRsForWavesPerEU: 20
; NumVGPRsForWavesPerEU: 256
; Occupancy: 5
; WaveLimiterHint : 1
; COMPUTE_PGM_RSRC2:SCRATCH_EN: 1
; COMPUTE_PGM_RSRC2:USER_SGPR: 2
; COMPUTE_PGM_RSRC2:TRAP_HANDLER: 0
; COMPUTE_PGM_RSRC2:TGID_X_EN: 1
; COMPUTE_PGM_RSRC2:TGID_Y_EN: 0
; COMPUTE_PGM_RSRC2:TGID_Z_EN: 0
; COMPUTE_PGM_RSRC2:TIDIG_COMP_CNT: 0
	.text
	.p2alignl 7, 3214868480
	.fill 96, 4, 3214868480
	.type	__hip_cuid_e883209ae63a1c35,@object ; @__hip_cuid_e883209ae63a1c35
	.section	.bss,"aw",@nobits
	.globl	__hip_cuid_e883209ae63a1c35
__hip_cuid_e883209ae63a1c35:
	.byte	0                               ; 0x0
	.size	__hip_cuid_e883209ae63a1c35, 1

	.ident	"AMD clang version 19.0.0git (https://github.com/RadeonOpenCompute/llvm-project roc-6.4.0 25133 c7fe45cf4b819c5991fe208aaa96edf142730f1d)"
	.section	".note.GNU-stack","",@progbits
	.addrsig
	.addrsig_sym __hip_cuid_e883209ae63a1c35
	.amdgpu_metadata
---
amdhsa.kernels:
  - .args:
      - .actual_access:  read_only
        .address_space:  global
        .offset:         0
        .size:           8
        .value_kind:     global_buffer
      - .actual_access:  read_only
        .address_space:  global
        .offset:         8
        .size:           8
        .value_kind:     global_buffer
      - .actual_access:  read_only
        .address_space:  global
        .offset:         16
        .size:           8
        .value_kind:     global_buffer
      - .actual_access:  read_only
        .address_space:  global
        .offset:         24
        .size:           8
        .value_kind:     global_buffer
      - .actual_access:  read_only
        .address_space:  global
        .offset:         32
        .size:           8
        .value_kind:     global_buffer
      - .offset:         40
        .size:           8
        .value_kind:     by_value
      - .address_space:  global
        .offset:         48
        .size:           8
        .value_kind:     global_buffer
      - .address_space:  global
        .offset:         56
        .size:           8
        .value_kind:     global_buffer
      - .address_space:  global
        .offset:         64
        .size:           8
        .value_kind:     global_buffer
      - .address_space:  global
        .offset:         72
        .size:           8
        .value_kind:     global_buffer
      - .offset:         80
        .size:           4
        .value_kind:     by_value
      - .address_space:  global
        .offset:         88
        .size:           8
        .value_kind:     global_buffer
      - .address_space:  global
        .offset:         96
        .size:           8
        .value_kind:     global_buffer
    .group_segment_fixed_size: 31416
    .kernarg_segment_align: 8
    .kernarg_segment_size: 104
    .language:       OpenCL C
    .language_version:
      - 2
      - 0
    .max_flat_workgroup_size: 187
    .name:           bluestein_single_fwd_len357_dim1_sp_op_CI_CI
    .private_segment_fixed_size: 116
    .sgpr_count:     20
    .sgpr_spill_count: 0
    .symbol:         bluestein_single_fwd_len357_dim1_sp_op_CI_CI.kd
    .uniform_work_group_size: 1
    .uses_dynamic_stack: false
    .vgpr_count:     256
    .vgpr_spill_count: 28
    .wavefront_size: 32
    .workgroup_processor_mode: 1
amdhsa.target:   amdgcn-amd-amdhsa--gfx1201
amdhsa.version:
  - 1
  - 2
...

	.end_amdgpu_metadata
